;; amdgpu-corpus repo=ROCm/rocFFT kind=compiled arch=gfx1030 opt=O3
	.text
	.amdgcn_target "amdgcn-amd-amdhsa--gfx1030"
	.amdhsa_code_object_version 6
	.protected	bluestein_single_back_len338_dim1_dp_op_CI_CI ; -- Begin function bluestein_single_back_len338_dim1_dp_op_CI_CI
	.globl	bluestein_single_back_len338_dim1_dp_op_CI_CI
	.p2align	8
	.type	bluestein_single_back_len338_dim1_dp_op_CI_CI,@function
bluestein_single_back_len338_dim1_dp_op_CI_CI: ; @bluestein_single_back_len338_dim1_dp_op_CI_CI
; %bb.0:
	s_load_dwordx4 s[12:15], s[4:5], 0x28
	v_mul_u32_u24_e32 v1, 0x9d9, v0
	v_mov_b32_e32 v185, 0
	s_mov_b32 s0, exec_lo
	v_lshrrev_b32_e32 v52, 16, v1
	v_lshl_add_u32 v184, s6, 1, v52
	s_waitcnt lgkmcnt(0)
	v_cmpx_gt_u64_e64 s[12:13], v[184:185]
	s_cbranch_execz .LBB0_10
; %bb.1:
	s_clause 0x1
	s_load_dwordx4 s[8:11], s[4:5], 0x18
	s_load_dwordx4 s[0:3], s[4:5], 0x0
	v_mul_lo_u16 v1, v52, 26
	v_and_b32_e32 v52, 1, v52
	s_mov_b32 s26, 0x42a4c3d2
	s_mov_b32 s30, 0x66966769
	;; [unrolled: 1-line block ×3, first 2 shown]
	v_sub_nc_u16 v132, v0, v1
	s_mov_b32 s28, 0x4bc48dbf
	s_mov_b32 s23, 0xbfddbe06
	;; [unrolled: 1-line block ×4, first 2 shown]
	v_and_b32_e32 v201, 0xffff, v132
	s_mov_b32 s31, 0xbfefc445
	s_mov_b32 s21, 0xbfe5384d
	;; [unrolled: 1-line block ×4, first 2 shown]
	v_lshlrev_b32_e32 v53, 4, v201
	s_mov_b32 s24, 0x93053d00
	s_mov_b32 s13, 0x3fe22d96
	s_waitcnt lgkmcnt(0)
	s_load_dwordx4 s[16:19], s[8:9], 0x0
	s_mov_b32 s25, 0xbfef11f4
	s_mov_b32 s37, 0x3fe5384d
	;; [unrolled: 1-line block ×6, first 2 shown]
	s_load_dwordx2 s[4:5], s[4:5], 0x38
	s_waitcnt lgkmcnt(0)
	v_mad_u64_u32 v[0:1], null, s18, v184, 0
	v_mad_u64_u32 v[2:3], null, s16, v201, 0
	s_mul_i32 s6, s17, 0x1a0
	s_mul_hi_u32 s8, s16, 0x1a0
	s_mul_i32 s7, s16, 0x1a0
	s_add_i32 s6, s8, s6
	v_mad_u64_u32 v[4:5], null, s19, v184, v[1:2]
	s_mov_b32 s18, 0x2ef20147
	s_mov_b32 s19, 0xbfedeba7
	;; [unrolled: 1-line block ×3, first 2 shown]
	v_mad_u64_u32 v[5:6], null, s17, v201, v[3:4]
	v_mov_b32_e32 v1, v4
	s_mov_b32 s16, 0xd0032e0c
	s_mov_b32 s17, 0xbfe7f3cc
	v_lshlrev_b64 v[0:1], 4, v[0:1]
	v_mov_b32_e32 v3, v5
	v_add_co_u32 v0, vcc_lo, s14, v0
	v_lshlrev_b64 v[2:3], 4, v[2:3]
	v_add_co_ci_u32_e32 v1, vcc_lo, s15, v1, vcc_lo
	s_mov_b32 s14, 0xe00740e9
	s_mov_b32 s15, 0x3fec55a7
	v_add_co_u32 v4, vcc_lo, v0, v2
	v_add_co_ci_u32_e32 v5, vcc_lo, v1, v3, vcc_lo
	global_load_dwordx4 v[16:19], v53, s[0:1]
	global_load_dwordx4 v[0:3], v[4:5], off
	v_add_co_u32 v4, vcc_lo, v4, s7
	v_add_co_ci_u32_e32 v5, vcc_lo, s6, v5, vcc_lo
	global_load_dwordx4 v[24:27], v53, s[0:1] offset:416
	v_add_co_u32 v12, vcc_lo, v4, s7
	v_add_co_ci_u32_e32 v13, vcc_lo, s6, v5, vcc_lo
	global_load_dwordx4 v[4:7], v[4:5], off
	global_load_dwordx4 v[28:31], v53, s[0:1] offset:832
	global_load_dwordx4 v[8:11], v[12:13], off
	v_add_co_u32 v20, vcc_lo, v12, s7
	v_add_co_ci_u32_e32 v21, vcc_lo, s6, v13, vcc_lo
	global_load_dwordx4 v[32:35], v53, s[0:1] offset:1248
	global_load_dwordx4 v[12:15], v[20:21], off
	v_add_co_u32 v40, vcc_lo, v20, s7
	v_add_co_ci_u32_e32 v41, vcc_lo, s6, v21, vcc_lo
	global_load_dwordx4 v[36:39], v53, s[0:1] offset:1664
	global_load_dwordx4 v[20:23], v[40:41], off
	v_add_co_u32 v195, s0, s0, v53
	v_add_co_ci_u32_e64 v196, null, s1, 0, s0
	v_add_co_u32 v40, vcc_lo, v40, s7
	v_add_co_ci_u32_e32 v41, vcc_lo, s6, v41, vcc_lo
	s_mov_b32 s0, 0xebaa3ed8
	s_mov_b32 s1, 0x3fbedb7d
	s_waitcnt vmcnt(8)
	v_mul_f64 v[42:43], v[2:3], v[18:19]
	v_mul_f64 v[44:45], v[0:1], v[18:19]
	s_waitcnt vmcnt(6)
	v_mul_f64 v[46:47], v[6:7], v[26:27]
	v_mul_f64 v[48:49], v[4:5], v[26:27]
	s_waitcnt vmcnt(4)
	v_mul_f64 v[50:51], v[10:11], v[30:31]
	v_fma_f64 v[54:55], v[0:1], v[16:17], v[42:43]
	v_mul_f64 v[0:1], v[8:9], v[30:31]
	v_fma_f64 v[56:57], v[2:3], v[16:17], -v[44:45]
	s_waitcnt vmcnt(2)
	v_mul_f64 v[2:3], v[14:15], v[34:35]
	v_add_co_u32 v42, vcc_lo, 0x800, v195
	v_add_co_ci_u32_e32 v43, vcc_lo, 0, v196, vcc_lo
	v_fma_f64 v[58:59], v[4:5], v[24:25], v[46:47]
	v_fma_f64 v[60:61], v[6:7], v[24:25], -v[48:49]
	v_mul_f64 v[4:5], v[12:13], v[34:35]
	s_waitcnt vmcnt(0)
	v_mul_f64 v[6:7], v[22:23], v[38:39]
	v_fma_f64 v[62:63], v[8:9], v[28:29], v[50:51]
	v_fma_f64 v[64:65], v[10:11], v[28:29], -v[0:1]
	v_mul_f64 v[0:1], v[20:21], v[38:39]
	v_fma_f64 v[66:67], v[12:13], v[32:33], v[2:3]
	v_fma_f64 v[68:69], v[14:15], v[32:33], -v[4:5]
	v_fma_f64 v[70:71], v[20:21], v[36:37], v[6:7]
	v_fma_f64 v[72:73], v[22:23], v[36:37], -v[0:1]
	global_load_dwordx4 v[0:3], v[40:41], off
	s_clause 0x1
	global_load_dwordx4 v[4:7], v[42:43], off offset:32
	global_load_dwordx4 v[8:11], v[42:43], off offset:448
	s_waitcnt vmcnt(1)
	v_mul_f64 v[12:13], v[2:3], v[6:7]
	v_mul_f64 v[14:15], v[0:1], v[6:7]
	v_fma_f64 v[74:75], v[0:1], v[4:5], v[12:13]
	v_add_co_u32 v12, vcc_lo, v40, s7
	v_add_co_ci_u32_e32 v13, vcc_lo, s6, v41, vcc_lo
	v_fma_f64 v[76:77], v[2:3], v[4:5], -v[14:15]
	v_add_co_u32 v40, vcc_lo, v12, s7
	global_load_dwordx4 v[0:3], v[12:13], off
	v_add_co_ci_u32_e32 v41, vcc_lo, s6, v13, vcc_lo
	s_waitcnt vmcnt(0)
	v_mul_f64 v[14:15], v[2:3], v[10:11]
	v_mul_f64 v[20:21], v[0:1], v[10:11]
	v_fma_f64 v[78:79], v[0:1], v[8:9], v[14:15]
	v_fma_f64 v[80:81], v[2:3], v[8:9], -v[20:21]
	global_load_dwordx4 v[20:23], v[40:41], off
	s_clause 0x1
	global_load_dwordx4 v[0:3], v[42:43], off offset:864
	global_load_dwordx4 v[12:15], v[42:43], off offset:1280
	v_add_co_u32 v40, vcc_lo, v40, s7
	v_add_co_ci_u32_e32 v41, vcc_lo, s6, v41, vcc_lo
	s_waitcnt vmcnt(1)
	v_mul_f64 v[44:45], v[22:23], v[2:3]
	v_mul_f64 v[46:47], v[20:21], v[2:3]
	v_fma_f64 v[82:83], v[20:21], v[0:1], v[44:45]
	v_fma_f64 v[84:85], v[22:23], v[0:1], -v[46:47]
	global_load_dwordx4 v[20:23], v[40:41], off
	s_waitcnt vmcnt(0)
	v_mul_f64 v[44:45], v[22:23], v[14:15]
	v_mul_f64 v[46:47], v[20:21], v[14:15]
	v_fma_f64 v[86:87], v[20:21], v[12:13], v[44:45]
	v_add_co_u32 v44, vcc_lo, v40, s7
	v_add_co_ci_u32_e32 v45, vcc_lo, s6, v41, vcc_lo
	v_fma_f64 v[88:89], v[22:23], v[12:13], -v[46:47]
	global_load_dwordx4 v[20:23], v[42:43], off offset:1696
	global_load_dwordx4 v[40:43], v[44:45], off
	v_add_co_u32 v98, vcc_lo, v44, s7
	v_add_co_ci_u32_e32 v99, vcc_lo, s6, v45, vcc_lo
	v_add_co_u32 v160, vcc_lo, 0x1000, v195
	v_add_co_ci_u32_e32 v161, vcc_lo, 0, v196, vcc_lo
	;; [unrolled: 2-line block ×3, first 2 shown]
	s_waitcnt vmcnt(0)
	v_mul_f64 v[46:47], v[42:43], v[22:23]
	v_mul_f64 v[48:49], v[40:41], v[22:23]
	v_fma_f64 v[90:91], v[40:41], v[20:21], v[46:47]
	v_fma_f64 v[92:93], v[42:43], v[20:21], -v[48:49]
	global_load_dwordx4 v[48:51], v[98:99], off
	s_clause 0x1
	global_load_dwordx4 v[40:43], v[160:161], off offset:64
	global_load_dwordx4 v[44:47], v[160:161], off offset:480
	s_waitcnt vmcnt(1)
	v_mul_f64 v[94:95], v[50:51], v[42:43]
	v_mul_f64 v[96:97], v[48:49], v[42:43]
	v_fma_f64 v[94:95], v[48:49], v[40:41], v[94:95]
	v_fma_f64 v[96:97], v[50:51], v[40:41], -v[96:97]
	global_load_dwordx4 v[48:51], v[102:103], off
	s_waitcnt vmcnt(0)
	v_mul_f64 v[98:99], v[50:51], v[46:47]
	v_mul_f64 v[100:101], v[48:49], v[46:47]
	v_fma_f64 v[98:99], v[48:49], v[44:45], v[98:99]
	v_add_co_u32 v48, vcc_lo, v102, s7
	v_add_co_ci_u32_e32 v49, vcc_lo, s6, v103, vcc_lo
	v_fma_f64 v[100:101], v[50:51], v[44:45], -v[100:101]
	global_load_dwordx4 v[102:105], v[48:49], off
	global_load_dwordx4 v[48:51], v[160:161], off offset:896
	v_cmp_eq_u32_e32 vcc_lo, 1, v52
	s_mov_b32 s6, 0xb2365da1
	s_mov_b32 s7, 0xbfd6b1d8
	v_cndmask_b32_e64 v203, 0, 0x1520, vcc_lo
	v_cmp_gt_u16_e32 vcc_lo, 13, v132
	v_add_nc_u32_e32 v202, v203, v53
	s_waitcnt vmcnt(0)
	v_mul_f64 v[106:107], v[104:105], v[50:51]
	v_mul_f64 v[108:109], v[102:103], v[50:51]
	v_fma_f64 v[102:103], v[102:103], v[48:49], v[106:107]
	v_fma_f64 v[104:105], v[104:105], v[48:49], -v[108:109]
	ds_write_b128 v202, v[54:57]
	ds_write_b128 v202, v[58:61] offset:416
	ds_write_b128 v202, v[62:65] offset:832
	ds_write_b128 v202, v[66:69] offset:1248
	ds_write_b128 v202, v[70:73] offset:1664
	ds_write_b128 v202, v[74:77] offset:2080
	ds_write_b128 v202, v[78:81] offset:2496
	ds_write_b128 v202, v[82:85] offset:2912
	ds_write_b128 v202, v[86:89] offset:3328
	ds_write_b128 v202, v[90:93] offset:3744
	ds_write_b128 v202, v[94:97] offset:4160
	ds_write_b128 v202, v[98:101] offset:4576
	ds_write_b128 v202, v[102:105] offset:4992
	s_load_dwordx4 s[8:11], s[10:11], 0x0
	s_waitcnt lgkmcnt(0)
	s_barrier
	buffer_gl0_inv
	ds_read_b128 v[52:55], v202
	ds_read_b128 v[56:59], v202 offset:416
	ds_read_b128 v[60:63], v202 offset:832
	;; [unrolled: 1-line block ×3, first 2 shown]
	s_waitcnt lgkmcnt(2)
	v_add_f64 v[68:69], v[52:53], v[56:57]
	v_add_f64 v[70:71], v[54:55], v[58:59]
	s_waitcnt lgkmcnt(1)
	v_add_f64 v[68:69], v[68:69], v[60:61]
	v_add_f64 v[70:71], v[70:71], v[62:63]
	;; [unrolled: 3-line block ×3, first 2 shown]
	ds_read_b128 v[68:71], v202 offset:1664
	ds_read_b128 v[72:75], v202 offset:2080
	s_waitcnt lgkmcnt(1)
	v_add_f64 v[76:77], v[76:77], v[68:69]
	v_add_f64 v[78:79], v[78:79], v[70:71]
	s_waitcnt lgkmcnt(0)
	v_add_f64 v[84:85], v[76:77], v[72:73]
	v_add_f64 v[86:87], v[78:79], v[74:75]
	ds_read_b128 v[76:79], v202 offset:2496
	ds_read_b128 v[80:83], v202 offset:2912
	s_waitcnt lgkmcnt(1)
	v_add_f64 v[90:91], v[84:85], v[76:77]
	v_add_f64 v[92:93], v[86:87], v[78:79]
	s_waitcnt lgkmcnt(0)
	v_add_f64 v[86:87], v[76:77], v[80:81]
	v_add_f64 v[84:85], v[78:79], v[82:83]
	v_add_f64 v[88:89], v[76:77], -v[80:81]
	v_add_f64 v[94:95], v[78:79], -v[82:83]
	v_add_f64 v[100:101], v[90:91], v[80:81]
	v_add_f64 v[102:103], v[92:93], v[82:83]
	ds_read_b128 v[80:83], v202 offset:3328
	ds_read_b128 v[90:93], v202 offset:3744
	s_waitcnt lgkmcnt(1)
	v_add_f64 v[76:77], v[72:73], v[80:81]
	v_add_f64 v[78:79], v[74:75], v[82:83]
	v_add_f64 v[96:97], v[72:73], -v[80:81]
	v_add_f64 v[98:99], v[74:75], -v[82:83]
	v_add_f64 v[80:81], v[100:101], v[80:81]
	v_add_f64 v[82:83], v[102:103], v[82:83]
	s_waitcnt lgkmcnt(0)
	v_add_f64 v[72:73], v[68:69], v[90:91]
	v_add_f64 v[74:75], v[70:71], v[92:93]
	v_add_f64 v[100:101], v[68:69], -v[90:91]
	v_add_f64 v[102:103], v[70:71], -v[92:93]
	ds_read_b128 v[68:71], v202 offset:4160
	ds_read_b128 v[112:115], v202 offset:4576
	v_add_f64 v[90:91], v[80:81], v[90:91]
	v_add_f64 v[92:93], v[82:83], v[92:93]
	s_waitcnt lgkmcnt(1)
	v_add_f64 v[80:81], v[64:65], v[68:69]
	v_add_f64 v[82:83], v[66:67], v[70:71]
	v_add_f64 v[104:105], v[64:65], -v[68:69]
	v_add_f64 v[106:107], v[66:67], -v[70:71]
	s_waitcnt lgkmcnt(0)
	v_add_f64 v[108:109], v[60:61], -v[112:113]
	v_add_f64 v[110:111], v[62:63], -v[114:115]
	v_add_f64 v[64:65], v[90:91], v[68:69]
	v_add_f64 v[66:67], v[92:93], v[70:71]
	;; [unrolled: 1-line block ×4, first 2 shown]
	ds_read_b128 v[60:63], v202 offset:4992
	s_waitcnt lgkmcnt(0)
	s_barrier
	buffer_gl0_inv
	v_add_f64 v[64:65], v[64:65], v[112:113]
	v_add_f64 v[66:67], v[66:67], v[114:115]
	v_add_f64 v[68:69], v[58:59], -v[62:63]
	v_add_f64 v[70:71], v[56:57], v[60:61]
	v_add_f64 v[58:59], v[58:59], v[62:63]
	v_add_f64 v[56:57], v[56:57], -v[60:61]
	v_add_f64 v[60:61], v[64:65], v[60:61]
	v_add_f64 v[62:63], v[66:67], v[62:63]
	v_mul_f64 v[64:65], v[68:69], s[22:23]
	v_mul_f64 v[66:67], v[68:69], s[26:27]
	;; [unrolled: 1-line block ×10, first 2 shown]
	v_fma_f64 v[118:119], v[70:71], s[14:15], -v[64:65]
	v_fma_f64 v[64:65], v[70:71], s[14:15], v[64:65]
	v_fma_f64 v[120:121], v[70:71], s[12:13], -v[66:67]
	v_fma_f64 v[66:67], v[70:71], s[12:13], v[66:67]
	;; [unrolled: 2-line block ×6, first 2 shown]
	v_mul_f64 v[70:71], v[56:57], s[22:23]
	v_mul_f64 v[56:57], v[56:57], s[28:29]
	v_fma_f64 v[143:144], v[58:59], s[0:1], v[130:131]
	v_fma_f64 v[130:131], v[58:59], s[0:1], -v[130:131]
	v_fma_f64 v[141:142], v[58:59], s[12:13], v[128:129]
	v_fma_f64 v[128:129], v[58:59], s[12:13], -v[128:129]
	;; [unrolled: 2-line block ×4, first 2 shown]
	s_mov_b32 s23, 0x3fddbe06
	v_add_f64 v[64:65], v[52:53], v[64:65]
	v_add_f64 v[151:152], v[52:53], v[120:121]
	;; [unrolled: 1-line block ×9, first 2 shown]
	v_fma_f64 v[139:140], v[58:59], s[14:15], v[70:71]
	v_fma_f64 v[149:150], v[58:59], s[24:25], v[56:57]
	v_fma_f64 v[56:57], v[58:59], s[24:25], -v[56:57]
	v_add_f64 v[162:163], v[54:55], v[130:131]
	v_add_f64 v[130:131], v[52:53], v[114:115]
	v_fma_f64 v[70:71], v[58:59], s[14:15], -v[70:71]
	v_add_f64 v[58:59], v[52:53], v[118:119]
	v_add_f64 v[118:119], v[52:53], v[133:134]
	v_mul_f64 v[68:69], v[106:107], s[30:31]
	v_add_f64 v[141:142], v[54:55], v[141:142]
	v_add_f64 v[153:154], v[54:55], v[128:129]
	;; [unrolled: 1-line block ×10, first 2 shown]
	v_mul_f64 v[56:57], v[110:111], s[26:27]
	v_add_f64 v[70:71], v[54:55], v[70:71]
	v_fma_f64 v[133:134], v[80:81], s[0:1], -v[68:69]
	v_fma_f64 v[52:53], v[90:91], s[12:13], -v[56:57]
	v_fma_f64 v[56:57], v[90:91], s[12:13], v[56:57]
	v_add_f64 v[52:53], v[52:53], v[58:59]
	v_mul_f64 v[58:59], v[108:109], s[26:27]
	v_add_f64 v[56:57], v[56:57], v[64:65]
	v_fma_f64 v[64:65], v[80:81], s[0:1], v[68:69]
	v_add_f64 v[52:53], v[133:134], v[52:53]
	v_fma_f64 v[54:55], v[92:93], s[12:13], v[58:59]
	v_mul_f64 v[133:134], v[104:105], s[30:31]
	v_fma_f64 v[58:59], v[92:93], s[12:13], -v[58:59]
	v_add_f64 v[56:57], v[64:65], v[56:57]
	v_add_f64 v[54:55], v[54:55], v[139:140]
	v_fma_f64 v[135:136], v[82:83], s[0:1], v[133:134]
	v_add_f64 v[58:59], v[58:59], v[70:71]
	v_fma_f64 v[64:65], v[82:83], s[0:1], -v[133:134]
	v_mul_f64 v[133:134], v[108:109], s[18:19]
	v_add_f64 v[54:55], v[135:136], v[54:55]
	v_mul_f64 v[135:136], v[102:103], s[18:19]
	v_add_f64 v[58:59], v[64:65], v[58:59]
	v_fma_f64 v[70:71], v[92:93], s[6:7], v[133:134]
	v_fma_f64 v[137:138], v[72:73], s[6:7], -v[135:136]
	v_fma_f64 v[64:65], v[72:73], s[6:7], v[135:136]
	v_mul_f64 v[135:136], v[106:107], s[28:29]
	v_add_f64 v[70:71], v[70:71], v[141:142]
	v_add_f64 v[52:53], v[137:138], v[52:53]
	v_mul_f64 v[137:138], v[100:101], s[18:19]
	v_add_f64 v[56:57], v[64:65], v[56:57]
	v_fma_f64 v[139:140], v[74:75], s[6:7], v[137:138]
	v_fma_f64 v[64:65], v[74:75], s[6:7], -v[137:138]
	v_fma_f64 v[137:138], v[80:81], s[24:25], -v[135:136]
	v_add_f64 v[54:55], v[139:140], v[54:55]
	v_mul_f64 v[139:140], v[98:99], s[20:21]
	v_add_f64 v[58:59], v[64:65], v[58:59]
	v_fma_f64 v[147:148], v[76:77], s[16:17], -v[139:140]
	v_fma_f64 v[64:65], v[76:77], s[16:17], v[139:140]
	v_add_f64 v[52:53], v[147:148], v[52:53]
	v_mul_f64 v[147:148], v[96:97], s[20:21]
	v_add_f64 v[56:57], v[64:65], v[56:57]
	v_fma_f64 v[149:150], v[78:79], s[16:17], v[147:148]
	v_fma_f64 v[64:65], v[78:79], s[16:17], -v[147:148]
	v_add_f64 v[54:55], v[149:150], v[54:55]
	v_mul_f64 v[149:150], v[94:95], s[28:29]
	v_add_f64 v[58:59], v[64:65], v[58:59]
	v_fma_f64 v[166:167], v[86:87], s[24:25], -v[149:150]
	v_fma_f64 v[64:65], v[86:87], s[24:25], v[149:150]
	v_add_f64 v[52:53], v[166:167], v[52:53]
	v_mul_f64 v[166:167], v[88:89], s[28:29]
	v_add_f64 v[56:57], v[64:65], v[56:57]
	v_mul_f64 v[64:65], v[110:111], s[18:19]
	v_fma_f64 v[68:69], v[84:85], s[24:25], -v[166:167]
	v_fma_f64 v[168:169], v[84:85], s[24:25], v[166:167]
	v_add_f64 v[58:59], v[68:69], v[58:59]
	v_fma_f64 v[68:69], v[90:91], s[6:7], -v[64:65]
	v_fma_f64 v[64:65], v[90:91], s[6:7], v[64:65]
	v_add_f64 v[54:55], v[168:169], v[54:55]
	v_add_f64 v[68:69], v[68:69], v[151:152]
	;; [unrolled: 1-line block ×3, first 2 shown]
	v_fma_f64 v[66:67], v[92:93], s[6:7], -v[133:134]
	v_fma_f64 v[133:134], v[80:81], s[24:25], v[135:136]
	v_add_f64 v[68:69], v[137:138], v[68:69]
	v_mul_f64 v[137:138], v[104:105], s[28:29]
	v_add_f64 v[66:67], v[66:67], v[153:154]
	v_add_f64 v[64:65], v[133:134], v[64:65]
	v_fma_f64 v[139:140], v[82:83], s[24:25], v[137:138]
	v_fma_f64 v[133:134], v[82:83], s[24:25], -v[137:138]
	v_mul_f64 v[137:138], v[110:111], s[28:29]
	v_add_f64 v[70:71], v[139:140], v[70:71]
	v_mul_f64 v[139:140], v[102:103], s[36:37]
	v_add_f64 v[66:67], v[133:134], v[66:67]
	v_fma_f64 v[141:142], v[72:73], s[16:17], -v[139:140]
	v_fma_f64 v[133:134], v[72:73], s[16:17], v[139:140]
	v_mul_f64 v[139:140], v[108:109], s[28:29]
	s_mov_b32 s29, 0x3fea55e2
	v_add_f64 v[68:69], v[141:142], v[68:69]
	v_mul_f64 v[141:142], v[100:101], s[36:37]
	v_add_f64 v[64:65], v[133:134], v[64:65]
	v_fma_f64 v[147:148], v[74:75], s[16:17], v[141:142]
	v_fma_f64 v[133:134], v[74:75], s[16:17], -v[141:142]
	v_mul_f64 v[141:142], v[106:107], s[38:39]
	v_add_f64 v[70:71], v[147:148], v[70:71]
	v_mul_f64 v[147:148], v[98:99], s[34:35]
	v_add_f64 v[66:67], v[133:134], v[66:67]
	v_fma_f64 v[149:150], v[76:77], s[0:1], -v[147:148]
	v_fma_f64 v[133:134], v[76:77], s[0:1], v[147:148]
	v_add_f64 v[68:69], v[149:150], v[68:69]
	v_mul_f64 v[149:150], v[96:97], s[34:35]
	v_add_f64 v[64:65], v[133:134], v[64:65]
	v_fma_f64 v[151:152], v[78:79], s[0:1], v[149:150]
	v_fma_f64 v[133:134], v[78:79], s[0:1], -v[149:150]
	v_add_f64 v[70:71], v[151:152], v[70:71]
	v_mul_f64 v[151:152], v[94:95], s[22:23]
	v_add_f64 v[66:67], v[133:134], v[66:67]
	v_fma_f64 v[166:167], v[86:87], s[14:15], -v[151:152]
	v_fma_f64 v[133:134], v[86:87], s[14:15], v[151:152]
	v_add_f64 v[68:69], v[166:167], v[68:69]
	v_mul_f64 v[166:167], v[88:89], s[22:23]
	v_add_f64 v[64:65], v[133:134], v[64:65]
	v_fma_f64 v[133:134], v[90:91], s[24:25], -v[137:138]
	v_fma_f64 v[137:138], v[90:91], s[24:25], v[137:138]
	v_fma_f64 v[135:136], v[84:85], s[14:15], -v[166:167]
	v_fma_f64 v[168:169], v[84:85], s[14:15], v[166:167]
	v_add_f64 v[133:134], v[133:134], v[155:156]
	v_add_f64 v[137:138], v[137:138], v[157:158]
	;; [unrolled: 1-line block ×3, first 2 shown]
	v_fma_f64 v[135:136], v[92:93], s[24:25], v[139:140]
	v_fma_f64 v[139:140], v[92:93], s[24:25], -v[139:140]
	v_add_f64 v[70:71], v[168:169], v[70:71]
	v_add_f64 v[135:136], v[135:136], v[143:144]
	v_fma_f64 v[143:144], v[80:81], s[6:7], -v[141:142]
	v_fma_f64 v[141:142], v[80:81], s[6:7], v[141:142]
	v_add_f64 v[139:140], v[139:140], v[162:163]
	v_add_f64 v[133:134], v[143:144], v[133:134]
	v_mul_f64 v[143:144], v[104:105], s[38:39]
	v_add_f64 v[137:138], v[141:142], v[137:138]
	v_fma_f64 v[147:148], v[82:83], s[6:7], v[143:144]
	v_fma_f64 v[141:142], v[82:83], s[6:7], -v[143:144]
	v_add_f64 v[135:136], v[147:148], v[135:136]
	v_mul_f64 v[147:148], v[102:103], s[22:23]
	v_add_f64 v[139:140], v[141:142], v[139:140]
	v_fma_f64 v[149:150], v[72:73], s[14:15], -v[147:148]
	v_fma_f64 v[141:142], v[72:73], s[14:15], v[147:148]
	v_mul_f64 v[147:148], v[110:111], s[36:37]
	v_add_f64 v[133:134], v[149:150], v[133:134]
	v_mul_f64 v[149:150], v[100:101], s[22:23]
	v_add_f64 v[137:138], v[141:142], v[137:138]
	v_fma_f64 v[151:152], v[74:75], s[14:15], v[149:150]
	v_fma_f64 v[141:142], v[74:75], s[14:15], -v[149:150]
	v_mul_f64 v[149:150], v[108:109], s[36:37]
	v_add_f64 v[135:136], v[151:152], v[135:136]
	v_mul_f64 v[151:152], v[98:99], s[26:27]
	v_add_f64 v[139:140], v[141:142], v[139:140]
	v_fma_f64 v[153:154], v[76:77], s[12:13], -v[151:152]
	v_fma_f64 v[141:142], v[76:77], s[12:13], v[151:152]
	v_add_f64 v[133:134], v[153:154], v[133:134]
	v_mul_f64 v[153:154], v[96:97], s[26:27]
	v_add_f64 v[137:138], v[141:142], v[137:138]
	v_fma_f64 v[155:156], v[78:79], s[12:13], v[153:154]
	v_fma_f64 v[141:142], v[78:79], s[12:13], -v[153:154]
	v_add_f64 v[135:136], v[155:156], v[135:136]
	v_mul_f64 v[155:156], v[94:95], s[20:21]
	v_add_f64 v[139:140], v[141:142], v[139:140]
	v_fma_f64 v[166:167], v[86:87], s[16:17], -v[155:156]
	v_fma_f64 v[141:142], v[86:87], s[16:17], v[155:156]
	v_add_f64 v[133:134], v[166:167], v[133:134]
	v_mul_f64 v[166:167], v[88:89], s[20:21]
	v_add_f64 v[137:138], v[141:142], v[137:138]
	v_fma_f64 v[141:142], v[90:91], s[16:17], -v[147:148]
	v_fma_f64 v[147:148], v[90:91], s[16:17], v[147:148]
	v_fma_f64 v[143:144], v[84:85], s[16:17], -v[166:167]
	v_fma_f64 v[168:169], v[84:85], s[16:17], v[166:167]
	v_add_f64 v[141:142], v[141:142], v[164:165]
	v_add_f64 v[130:131], v[147:148], v[130:131]
	v_fma_f64 v[147:148], v[92:93], s[16:17], -v[149:150]
	v_add_f64 v[139:140], v[143:144], v[139:140]
	v_fma_f64 v[143:144], v[92:93], s[16:17], v[149:150]
	v_add_f64 v[135:136], v[168:169], v[135:136]
	v_add_f64 v[128:129], v[147:148], v[128:129]
	;; [unrolled: 1-line block ×3, first 2 shown]
	v_mul_f64 v[145:146], v[106:107], s[22:23]
	v_fma_f64 v[151:152], v[80:81], s[14:15], -v[145:146]
	v_fma_f64 v[145:146], v[80:81], s[14:15], v[145:146]
	v_add_f64 v[141:142], v[151:152], v[141:142]
	v_mul_f64 v[151:152], v[104:105], s[22:23]
	v_add_f64 v[130:131], v[145:146], v[130:131]
	v_fma_f64 v[153:154], v[82:83], s[14:15], v[151:152]
	v_fma_f64 v[145:146], v[82:83], s[14:15], -v[151:152]
	v_add_f64 v[143:144], v[153:154], v[143:144]
	v_mul_f64 v[153:154], v[102:103], s[30:31]
	v_add_f64 v[128:129], v[145:146], v[128:129]
	v_fma_f64 v[155:156], v[72:73], s[0:1], -v[153:154]
	v_fma_f64 v[145:146], v[72:73], s[0:1], v[153:154]
	v_add_f64 v[141:142], v[155:156], v[141:142]
	v_mul_f64 v[155:156], v[100:101], s[30:31]
	s_mov_b32 s31, 0x3fcea1e5
	s_mov_b32 s30, s28
	;; [unrolled: 1-line block ×3, first 2 shown]
	v_add_f64 v[130:131], v[145:146], v[130:131]
	v_fma_f64 v[157:158], v[74:75], s[0:1], v[155:156]
	v_fma_f64 v[145:146], v[74:75], s[0:1], -v[155:156]
	v_add_f64 v[143:144], v[157:158], v[143:144]
	v_mul_f64 v[157:158], v[98:99], s[30:31]
	v_add_f64 v[128:129], v[145:146], v[128:129]
	v_fma_f64 v[162:163], v[76:77], s[24:25], -v[157:158]
	v_fma_f64 v[145:146], v[76:77], s[24:25], v[157:158]
	v_add_f64 v[141:142], v[162:163], v[141:142]
	v_mul_f64 v[162:163], v[96:97], s[30:31]
	v_add_f64 v[130:131], v[145:146], v[130:131]
	v_fma_f64 v[164:165], v[78:79], s[24:25], v[162:163]
	v_fma_f64 v[145:146], v[78:79], s[24:25], -v[162:163]
	v_add_f64 v[143:144], v[164:165], v[143:144]
	v_mul_f64 v[164:165], v[94:95], s[28:29]
	v_add_f64 v[145:146], v[145:146], v[128:129]
	v_fma_f64 v[166:167], v[86:87], s[12:13], -v[164:165]
	v_fma_f64 v[128:129], v[86:87], s[12:13], v[164:165]
	v_add_f64 v[141:142], v[166:167], v[141:142]
	v_mul_f64 v[166:167], v[88:89], s[28:29]
	v_add_f64 v[128:129], v[128:129], v[130:131]
	v_fma_f64 v[147:148], v[84:85], s[12:13], -v[166:167]
	v_fma_f64 v[168:169], v[84:85], s[12:13], v[166:167]
	v_mul_f64 v[166:167], v[94:95], s[18:19]
	v_add_f64 v[130:131], v[147:148], v[145:146]
	v_mul_f64 v[145:146], v[110:111], s[34:35]
	v_add_f64 v[143:144], v[168:169], v[143:144]
	v_mul_f64 v[168:169], v[88:89], s[18:19]
	v_mul_f64 v[110:111], v[110:111], s[22:23]
	v_mul_f64 v[88:89], v[88:89], s[34:35]
	v_fma_f64 v[147:148], v[90:91], s[0:1], -v[145:146]
	v_fma_f64 v[145:146], v[90:91], s[0:1], v[145:146]
	v_add_f64 v[126:127], v[147:148], v[126:127]
	v_mul_f64 v[147:148], v[108:109], s[34:35]
	v_add_f64 v[122:123], v[145:146], v[122:123]
	v_mul_f64 v[108:109], v[108:109], s[22:23]
	v_fma_f64 v[149:150], v[92:93], s[0:1], v[147:148]
	v_fma_f64 v[145:146], v[92:93], s[0:1], -v[147:148]
	v_fma_f64 v[147:148], v[84:85], s[6:7], -v[168:169]
	v_add_f64 v[124:125], v[149:150], v[124:125]
	v_mul_f64 v[149:150], v[106:107], s[26:27]
	v_add_f64 v[120:121], v[145:146], v[120:121]
	v_mul_f64 v[106:107], v[106:107], s[20:21]
	v_fma_f64 v[151:152], v[80:81], s[12:13], -v[149:150]
	v_fma_f64 v[145:146], v[80:81], s[12:13], v[149:150]
	v_add_f64 v[126:127], v[151:152], v[126:127]
	v_mul_f64 v[151:152], v[104:105], s[26:27]
	v_add_f64 v[122:123], v[145:146], v[122:123]
	v_mul_f64 v[104:105], v[104:105], s[20:21]
	v_fma_f64 v[153:154], v[82:83], s[12:13], v[151:152]
	v_fma_f64 v[145:146], v[82:83], s[12:13], -v[151:152]
	v_add_f64 v[124:125], v[153:154], v[124:125]
	v_mul_f64 v[153:154], v[102:103], s[30:31]
	v_add_f64 v[120:121], v[145:146], v[120:121]
	v_mul_f64 v[102:103], v[102:103], s[28:29]
	v_fma_f64 v[155:156], v[72:73], s[24:25], -v[153:154]
	v_fma_f64 v[145:146], v[72:73], s[24:25], v[153:154]
	v_add_f64 v[126:127], v[155:156], v[126:127]
	v_mul_f64 v[155:156], v[100:101], s[30:31]
	v_add_f64 v[122:123], v[145:146], v[122:123]
	v_mul_f64 v[100:101], v[100:101], s[28:29]
	v_fma_f64 v[157:158], v[74:75], s[24:25], v[155:156]
	v_fma_f64 v[145:146], v[74:75], s[24:25], -v[155:156]
	v_add_f64 v[124:125], v[157:158], v[124:125]
	v_mul_f64 v[157:158], v[98:99], s[22:23]
	v_add_f64 v[120:121], v[145:146], v[120:121]
	v_mul_f64 v[98:99], v[98:99], s[18:19]
	v_fma_f64 v[162:163], v[76:77], s[14:15], -v[157:158]
	v_fma_f64 v[145:146], v[76:77], s[14:15], v[157:158]
	v_add_f64 v[126:127], v[162:163], v[126:127]
	v_mul_f64 v[162:163], v[96:97], s[22:23]
	v_add_f64 v[122:123], v[145:146], v[122:123]
	v_fma_f64 v[145:146], v[78:79], s[14:15], -v[162:163]
	v_fma_f64 v[164:165], v[78:79], s[14:15], v[162:163]
	v_add_f64 v[145:146], v[145:146], v[120:121]
	v_fma_f64 v[120:121], v[86:87], s[6:7], v[166:167]
	v_add_f64 v[164:165], v[164:165], v[124:125]
	v_fma_f64 v[124:125], v[86:87], s[6:7], -v[166:167]
	v_add_f64 v[120:121], v[120:121], v[122:123]
	v_add_f64 v[122:123], v[147:148], v[145:146]
	v_fma_f64 v[145:146], v[90:91], s[14:15], -v[110:111]
	v_fma_f64 v[90:91], v[90:91], s[14:15], v[110:111]
	v_add_f64 v[124:125], v[124:125], v[126:127]
	v_fma_f64 v[126:127], v[84:85], s[6:7], v[168:169]
	v_add_f64 v[118:119], v[145:146], v[118:119]
	v_fma_f64 v[145:146], v[92:93], s[14:15], v[108:109]
	v_fma_f64 v[92:93], v[92:93], s[14:15], -v[108:109]
	v_add_f64 v[90:91], v[90:91], v[112:113]
	v_add_f64 v[126:127], v[126:127], v[164:165]
	;; [unrolled: 1-line block ×3, first 2 shown]
	v_fma_f64 v[145:146], v[80:81], s[16:17], -v[106:107]
	v_fma_f64 v[80:81], v[80:81], s[16:17], v[106:107]
	v_add_f64 v[92:93], v[92:93], v[114:115]
	v_add_f64 v[118:119], v[145:146], v[118:119]
	v_fma_f64 v[145:146], v[82:83], s[16:17], v[104:105]
	v_fma_f64 v[82:83], v[82:83], s[16:17], -v[104:105]
	v_add_f64 v[80:81], v[80:81], v[90:91]
	v_add_f64 v[116:117], v[145:146], v[116:117]
	v_fma_f64 v[145:146], v[72:73], s[12:13], -v[102:103]
	v_fma_f64 v[72:73], v[72:73], s[12:13], v[102:103]
	v_add_f64 v[82:83], v[82:83], v[92:93]
                                        ; implicit-def: $vgpr92_vgpr93
	v_add_f64 v[118:119], v[145:146], v[118:119]
	v_fma_f64 v[145:146], v[74:75], s[12:13], v[100:101]
	v_fma_f64 v[74:75], v[74:75], s[12:13], -v[100:101]
	v_add_f64 v[72:73], v[72:73], v[80:81]
	v_add_f64 v[116:117], v[145:146], v[116:117]
	v_fma_f64 v[145:146], v[76:77], s[6:7], -v[98:99]
	v_fma_f64 v[76:77], v[76:77], s[6:7], v[98:99]
	v_add_f64 v[74:75], v[74:75], v[82:83]
	v_fma_f64 v[82:83], v[84:85], s[0:1], -v[88:89]
	v_add_f64 v[118:119], v[145:146], v[118:119]
	v_mul_f64 v[145:146], v[96:97], s[18:19]
	v_add_f64 v[72:73], v[76:77], v[72:73]
	v_mul_lo_u16 v76, v132, 13
	v_and_b32_e32 v76, 0xffff, v76
	v_lshl_add_u32 v204, v76, 4, v203
	v_fma_f64 v[96:97], v[78:79], s[6:7], v[145:146]
	v_fma_f64 v[78:79], v[78:79], s[6:7], -v[145:146]
	v_add_f64 v[96:97], v[96:97], v[116:117]
	v_mul_f64 v[116:117], v[94:95], s[34:35]
	v_add_f64 v[74:75], v[78:79], v[74:75]
	v_fma_f64 v[94:95], v[86:87], s[0:1], -v[116:117]
	v_fma_f64 v[80:81], v[86:87], s[0:1], v[116:117]
	v_add_f64 v[74:75], v[82:83], v[74:75]
	v_add_f64 v[94:95], v[94:95], v[118:119]
	v_fma_f64 v[118:119], v[84:85], s[0:1], v[88:89]
	v_add_f64 v[72:73], v[80:81], v[72:73]
	v_add_f64 v[96:97], v[118:119], v[96:97]
	ds_write_b128 v204, v[52:55] offset:16
	ds_write_b128 v204, v[68:71] offset:32
	ds_write_b128 v204, v[133:136] offset:48
	ds_write_b128 v204, v[141:144] offset:64
	ds_write_b128 v204, v[124:127] offset:80
	ds_write_b128 v204, v[94:97] offset:96
	ds_write_b128 v204, v[72:75] offset:112
	ds_write_b128 v204, v[120:123] offset:128
	ds_write_b128 v204, v[128:131] offset:144
	ds_write_b128 v204, v[137:140] offset:160
	ds_write_b128 v204, v[64:67] offset:176
	ds_write_b128 v204, v[60:63]
	ds_write_b128 v204, v[56:59] offset:192
	s_waitcnt lgkmcnt(0)
	s_barrier
	buffer_gl0_inv
	ds_read_b128 v[60:63], v202
	ds_read_b128 v[64:67], v202 offset:416
	ds_read_b128 v[116:119], v202 offset:2704
	;; [unrolled: 1-line block ×11, first 2 shown]
	s_and_saveexec_b32 s0, vcc_lo
	s_cbranch_execz .LBB0_3
; %bb.2:
	ds_read_b128 v[56:59], v202 offset:2496
	ds_read_b128 v[92:95], v202 offset:5200
.LBB0_3:
	s_or_b32 exec_lo, exec_lo, s0
	v_add_nc_u16 v54, v201, 26
	v_add_co_u32 v52, s0, v201, -13
	v_add_co_ci_u32_e64 v53, null, 0, -1, s0
	v_and_b32_e32 v55, 0xff, v54
	v_add_nc_u16 v97, v201, 52
	v_add_nc_u16 v98, v201, 0x4e
	;; [unrolled: 1-line block ×3, first 2 shown]
	v_cndmask_b32_e64 v137, v53, 0, vcc_lo
	v_mul_lo_u16 v55, 0x4f, v55
	v_cndmask_b32_e32 v136, v52, v201, vcc_lo
	v_add_nc_u16 v100, v201, 0x82
	v_and_b32_e32 v84, 0xff, v97
	v_and_b32_e32 v85, 0xff, v99
	v_lshrrev_b16 v159, 10, v55
	v_and_b32_e32 v55, 0xff, v98
	v_lshlrev_b64 v[52:53], 4, v[136:137]
	v_and_b32_e32 v86, 0xff, v100
	v_mul_lo_u16 v84, 0x4f, v84
	v_mul_lo_u16 v87, v159, 13
	;; [unrolled: 1-line block ×3, first 2 shown]
	v_mov_b32_e32 v96, 4
	v_mul_lo_u16 v85, 0x4f, v85
	v_add_co_u32 v52, s0, s2, v52
	v_sub_nc_u16 v164, v54, v87
	v_mul_lo_u16 v101, 0x4f, v86
	v_add_co_ci_u32_e64 v53, s0, s3, v53, s0
	v_lshrrev_b16 v165, 10, v84
	v_lshrrev_b16 v166, 10, v55
	v_lshlrev_b32_sdwa v54, v96, v164 dst_sel:DWORD dst_unused:UNUSED_PAD src0_sel:DWORD src1_sel:BYTE_0
	v_lshrrev_b16 v167, 10, v85
	s_clause 0x1
	global_load_dwordx4 v[88:91], v[52:53], off
	global_load_dwordx4 v[84:87], v54, s[2:3]
	v_mul_lo_u16 v52, v165, 13
	v_lshrrev_b16 v168, 10, v101
	v_mul_lo_u16 v53, v166, 13
	v_add_nc_u16 v55, v201, 0x9c
	v_mul_lo_u16 v54, v167, 13
	v_sub_nc_u16 v169, v97, v52
	v_mul_lo_u16 v52, v168, 13
	v_sub_nc_u16 v170, v98, v53
	v_and_b32_e32 v53, 0xff, v55
	v_sub_nc_u16 v171, v99, v54
	v_lshlrev_b32_sdwa v54, v96, v169 dst_sel:DWORD dst_unused:UNUSED_PAD src0_sel:DWORD src1_sel:BYTE_0
	v_sub_nc_u16 v172, v100, v52
	v_lshlrev_b32_sdwa v52, v96, v170 dst_sel:DWORD dst_unused:UNUSED_PAD src0_sel:DWORD src1_sel:BYTE_0
	v_mul_lo_u16 v53, 0x4f, v53
	v_lshlrev_b32_sdwa v97, v96, v171 dst_sel:DWORD dst_unused:UNUSED_PAD src0_sel:DWORD src1_sel:BYTE_0
	global_load_dwordx4 v[104:107], v54, s[2:3]
	v_lshlrev_b32_sdwa v54, v96, v172 dst_sel:DWORD dst_unused:UNUSED_PAD src0_sel:DWORD src1_sel:BYTE_0
	s_clause 0x1
	global_load_dwordx4 v[108:111], v52, s[2:3]
	global_load_dwordx4 v[96:99], v97, s[2:3]
	v_lshrrev_b16 v52, 10, v53
	v_cmp_lt_u16_e64 s0, 12, v201
	global_load_dwordx4 v[100:103], v54, s[2:3]
	v_mul_lo_u16 v52, v52, 13
	v_cndmask_b32_e64 v173, 0, 26, s0
	v_sub_nc_u16 v52, v55, v52
	v_and_b32_e32 v205, 0xff, v52
	v_lshlrev_b32_e32 v52, 4, v205
	global_load_dwordx4 v[52:55], v52, s[2:3]
	s_waitcnt vmcnt(0) lgkmcnt(0)
	s_barrier
	buffer_gl0_inv
	v_mul_f64 v[137:138], v[118:119], v[90:91]
	v_mul_f64 v[139:140], v[116:117], v[90:91]
	;; [unrolled: 1-line block ×12, first 2 shown]
	v_fma_f64 v[116:117], v[116:117], v[88:89], -v[137:138]
	v_fma_f64 v[118:119], v[118:119], v[88:89], v[139:140]
	v_fma_f64 v[137:138], v[112:113], v[84:85], -v[141:142]
	v_fma_f64 v[139:140], v[114:115], v[84:85], v[143:144]
	v_add_nc_u32_e32 v112, v136, v173
	v_lshl_add_u32 v206, v112, 4, v203
	v_fma_f64 v[124:125], v[124:125], v[104:105], -v[145:146]
	v_fma_f64 v[126:127], v[126:127], v[104:105], v[147:148]
	v_fma_f64 v[141:142], v[120:121], v[108:109], -v[149:150]
	v_fma_f64 v[143:144], v[122:123], v[108:109], v[151:152]
	;; [unrolled: 2-line block ×3, first 2 shown]
	v_fma_f64 v[145:146], v[128:129], v[100:101], -v[157:158]
	v_mul_f64 v[149:150], v[94:95], v[54:55]
	v_mul_f64 v[151:152], v[92:93], v[54:55]
	v_fma_f64 v[147:148], v[130:131], v[100:101], v[162:163]
	v_add_f64 v[112:113], v[60:61], -v[116:117]
	v_add_f64 v[114:115], v[62:63], -v[118:119]
	;; [unrolled: 1-line block ×4, first 2 shown]
	v_mov_b32_e32 v153, 26
	v_mad_u16 v140, v159, 26, v164
	v_mul_u32_u24_sdwa v154, v165, v153 dst_sel:DWORD dst_unused:UNUSED_PAD src0_sel:WORD_0 src1_sel:DWORD
	v_add_f64 v[120:121], v[68:69], -v[124:125]
	v_add_f64 v[122:123], v[70:71], -v[126:127]
	;; [unrolled: 1-line block ×7, first 2 shown]
	v_fma_f64 v[92:93], v[92:93], v[52:53], -v[149:150]
	v_fma_f64 v[94:95], v[94:95], v[52:53], v[151:152]
	v_add_f64 v[138:139], v[82:83], -v[147:148]
	v_mul_u32_u24_sdwa v124, v166, v153 dst_sel:DWORD dst_unused:UNUSED_PAD src0_sel:WORD_0 src1_sel:DWORD
	v_mul_u32_u24_sdwa v125, v167, v153 dst_sel:DWORD dst_unused:UNUSED_PAD src0_sel:WORD_0 src1_sel:DWORD
	;; [unrolled: 1-line block ×3, first 2 shown]
	v_fma_f64 v[60:61], v[60:61], 2.0, -v[112:113]
	v_fma_f64 v[62:63], v[62:63], 2.0, -v[114:115]
	v_add_nc_u32_sdwa v142, v124, v170 dst_sel:DWORD dst_unused:UNUSED_PAD src0_sel:DWORD src1_sel:BYTE_0
	v_add_nc_u32_sdwa v143, v125, v171 dst_sel:DWORD dst_unused:UNUSED_PAD src0_sel:DWORD src1_sel:BYTE_0
	;; [unrolled: 1-line block ×3, first 2 shown]
	v_fma_f64 v[64:65], v[64:65], 2.0, -v[116:117]
	v_fma_f64 v[66:67], v[66:67], 2.0, -v[118:119]
	v_add_nc_u32_sdwa v141, v154, v169 dst_sel:DWORD dst_unused:UNUSED_PAD src0_sel:DWORD src1_sel:BYTE_0
	v_lshl_add_u32 v209, v142, 4, v203
	v_fma_f64 v[68:69], v[68:69], 2.0, -v[120:121]
	v_fma_f64 v[70:71], v[70:71], 2.0, -v[122:123]
	;; [unrolled: 1-line block ×7, first 2 shown]
	v_add_f64 v[124:125], v[56:57], -v[92:93]
	v_add_f64 v[126:127], v[58:59], -v[94:95]
	v_fma_f64 v[82:83], v[82:83], 2.0, -v[138:139]
	v_and_b32_e32 v92, 0xff, v140
	v_lshl_add_u32 v210, v141, 4, v203
	v_lshl_add_u32 v208, v143, 4, v203
	;; [unrolled: 1-line block ×4, first 2 shown]
	ds_write_b128 v206, v[112:115] offset:208
	ds_write_b128 v206, v[60:63]
	ds_write_b128 v211, v[116:119] offset:208
	ds_write_b128 v211, v[64:67]
	ds_write_b128 v210, v[68:71]
	ds_write_b128 v210, v[120:123] offset:208
	ds_write_b128 v209, v[72:75]
	ds_write_b128 v209, v[128:131] offset:208
	;; [unrolled: 2-line block ×4, first 2 shown]
	s_and_saveexec_b32 s0, vcc_lo
	s_cbranch_execz .LBB0_5
; %bb.4:
	v_fma_f64 v[58:59], v[58:59], 2.0, -v[126:127]
	v_fma_f64 v[56:57], v[56:57], 2.0, -v[124:125]
	v_lshl_add_u32 v60, v205, 4, v203
	ds_write_b128 v60, v[56:59] offset:4992
	ds_write_b128 v60, v[124:127] offset:5200
.LBB0_5:
	s_or_b32 exec_lo, exec_lo, s0
	v_mad_u64_u32 v[162:163], null, 0xc0, v201, s[2:3]
	s_waitcnt lgkmcnt(0)
	s_barrier
	buffer_gl0_inv
	ds_read_b128 v[136:139], v202
	ds_read_b128 v[68:71], v202 offset:416
	ds_read_b128 v[72:75], v202 offset:832
	;; [unrolled: 1-line block ×12, first 2 shown]
	s_mov_b32 s24, 0x4267c47c
	s_mov_b32 s18, 0x42a4c3d2
	s_clause 0x3
	global_load_dwordx4 v[56:59], v[162:163], off offset:256
	global_load_dwordx4 v[60:63], v[162:163], off offset:240
	;; [unrolled: 1-line block ×4, first 2 shown]
	s_mov_b32 s6, 0x66966769
	s_mov_b32 s12, 0x2ef20147
	;; [unrolled: 1-line block ×33, first 2 shown]
	s_waitcnt vmcnt(0) lgkmcnt(11)
	v_mul_f64 v[140:141], v[70:71], v[94:95]
	v_fma_f64 v[182:183], v[68:69], v[92:93], -v[140:141]
	v_mul_f64 v[68:69], v[68:69], v[94:95]
	v_fma_f64 v[193:194], v[70:71], v[92:93], v[68:69]
	s_waitcnt lgkmcnt(10)
	v_mul_f64 v[68:69], v[74:75], v[66:67]
	v_fma_f64 v[174:175], v[72:73], v[64:65], -v[68:69]
	v_mul_f64 v[68:69], v[72:73], v[66:67]
	v_fma_f64 v[172:173], v[74:75], v[64:65], v[68:69]
	s_waitcnt lgkmcnt(9)
	;; [unrolled: 5-line block ×3, first 2 shown]
	v_mul_f64 v[68:69], v[82:83], v[58:59]
	v_fma_f64 v[158:159], v[80:81], v[56:57], -v[68:69]
	v_mul_f64 v[68:69], v[80:81], v[58:59]
	v_fma_f64 v[154:155], v[82:83], v[56:57], v[68:69]
	s_clause 0x3
	global_load_dwordx4 v[68:71], v[162:163], off offset:320
	global_load_dwordx4 v[72:75], v[162:163], off offset:304
	;; [unrolled: 1-line block ×4, first 2 shown]
	s_waitcnt vmcnt(0) lgkmcnt(7)
	v_mul_f64 v[140:141], v[114:115], v[82:83]
	v_fma_f64 v[152:153], v[112:113], v[80:81], -v[140:141]
	v_mul_f64 v[112:113], v[112:113], v[82:83]
	v_fma_f64 v[148:149], v[114:115], v[80:81], v[112:113]
	s_waitcnt lgkmcnt(6)
	v_mul_f64 v[112:113], v[118:119], v[78:79]
	v_fma_f64 v[144:145], v[116:117], v[76:77], -v[112:113]
	v_mul_f64 v[112:113], v[116:117], v[78:79]
	v_fma_f64 v[140:141], v[118:119], v[76:77], v[112:113]
	s_waitcnt lgkmcnt(5)
	;; [unrolled: 5-line block ×3, first 2 shown]
	v_mul_f64 v[112:113], v[130:131], v[70:71]
	v_fma_f64 v[156:157], v[128:129], v[68:69], -v[112:113]
	v_mul_f64 v[112:113], v[128:129], v[70:71]
	v_fma_f64 v[150:151], v[130:131], v[68:69], v[112:113]
	s_clause 0x3
	global_load_dwordx4 v[120:123], v[162:163], off offset:384
	global_load_dwordx4 v[116:119], v[162:163], off offset:368
	;; [unrolled: 1-line block ×4, first 2 shown]
	s_waitcnt vmcnt(0) lgkmcnt(3)
	v_mul_f64 v[162:163], v[134:135], v[130:131]
	v_fma_f64 v[166:167], v[132:133], v[128:129], -v[162:163]
	v_mul_f64 v[132:133], v[132:133], v[130:131]
	v_fma_f64 v[162:163], v[134:135], v[128:129], v[132:133]
	s_waitcnt lgkmcnt(2)
	v_mul_f64 v[132:133], v[180:181], v[114:115]
	v_add_f64 v[134:135], v[138:139], v[193:194]
	v_fma_f64 v[176:177], v[178:179], v[112:113], -v[132:133]
	v_mul_f64 v[132:133], v[178:179], v[114:115]
	v_add_f64 v[134:135], v[134:135], v[172:173]
	v_fma_f64 v[168:169], v[180:181], v[112:113], v[132:133]
	s_waitcnt lgkmcnt(1)
	v_mul_f64 v[132:133], v[187:188], v[118:119]
	v_add_f64 v[134:135], v[134:135], v[164:165]
	v_fma_f64 v[180:181], v[185:186], v[116:117], -v[132:133]
	v_mul_f64 v[132:133], v[185:186], v[118:119]
	v_add_f64 v[134:135], v[134:135], v[154:155]
	;; [unrolled: 7-line block ×3, first 2 shown]
	v_add_f64 v[189:190], v[182:183], v[185:186]
	v_fma_f64 v[187:188], v[191:192], v[120:121], v[132:133]
	v_add_f64 v[132:133], v[136:137], v[182:183]
	v_add_f64 v[134:135], v[134:135], v[142:143]
	v_add_f64 v[182:183], v[182:183], -v[185:186]
	v_add_f64 v[191:192], v[193:194], v[187:188]
	v_add_f64 v[132:133], v[132:133], v[174:175]
	;; [unrolled: 1-line block ×3, first 2 shown]
	v_mul_f64 v[197:198], v[182:183], s[24:25]
	v_mul_f64 v[216:217], v[182:183], s[18:19]
	v_mul_f64 v[224:225], v[182:183], s[6:7]
	v_mul_f64 v[232:233], v[182:183], s[12:13]
	v_mul_f64 v[240:241], v[182:183], s[26:27]
	v_mul_f64 v[182:183], v[182:183], s[30:31]
	v_add_f64 v[132:133], v[132:133], v[170:171]
	v_add_f64 v[134:135], v[134:135], v[162:163]
	v_fma_f64 v[199:200], v[191:192], s[22:23], v[197:198]
	v_fma_f64 v[197:198], v[191:192], s[22:23], -v[197:198]
	v_fma_f64 v[218:219], v[191:192], s[16:17], v[216:217]
	v_fma_f64 v[216:217], v[191:192], s[16:17], -v[216:217]
	;; [unrolled: 2-line block ×6, first 2 shown]
	v_add_f64 v[132:133], v[132:133], v[158:159]
	v_add_f64 v[134:135], v[134:135], v[168:169]
	;; [unrolled: 1-line block ×15, first 2 shown]
	v_add_f64 v[174:175], v[174:175], -v[180:181]
	v_add_f64 v[132:133], v[132:133], v[152:153]
	v_add_f64 v[134:135], v[134:135], v[178:179]
	;; [unrolled: 1-line block ×10, first 2 shown]
	v_add_f64 v[185:186], v[193:194], -v[187:188]
	v_mul_f64 v[187:188], v[185:186], s[24:25]
	v_mul_f64 v[212:213], v[185:186], s[18:19]
	;; [unrolled: 1-line block ×6, first 2 shown]
	v_fma_f64 v[193:194], v[189:190], s[22:23], -v[187:188]
	v_fma_f64 v[187:188], v[189:190], s[22:23], v[187:188]
	v_fma_f64 v[214:215], v[189:190], s[16:17], -v[212:213]
	v_fma_f64 v[212:213], v[189:190], s[16:17], v[212:213]
	;; [unrolled: 2-line block ×6, first 2 shown]
	v_mul_f64 v[189:190], v[174:175], s[18:19]
	v_add_f64 v[193:194], v[136:137], v[193:194]
	v_add_f64 v[187:188], v[136:137], v[187:188]
	;; [unrolled: 1-line block ×13, first 2 shown]
	v_add_f64 v[172:173], v[172:173], -v[178:179]
	v_fma_f64 v[191:192], v[185:186], s[16:17], v[189:190]
	v_mul_f64 v[178:179], v[172:173], s[18:19]
	v_add_f64 v[191:192], v[191:192], v[199:200]
	v_fma_f64 v[180:181], v[182:183], s[16:17], -v[178:179]
	v_fma_f64 v[178:179], v[182:183], s[16:17], v[178:179]
	v_add_f64 v[180:181], v[180:181], v[193:194]
	v_add_f64 v[178:179], v[178:179], v[187:188]
	v_fma_f64 v[187:188], v[185:186], s[16:17], -v[189:190]
	v_mul_f64 v[189:190], v[172:173], s[12:13]
	v_add_f64 v[187:188], v[187:188], v[197:198]
	v_fma_f64 v[193:194], v[182:183], s[14:15], -v[189:190]
	v_fma_f64 v[189:190], v[182:183], s[14:15], v[189:190]
	v_mul_f64 v[197:198], v[174:175], s[12:13]
	v_add_f64 v[193:194], v[193:194], v[214:215]
	v_add_f64 v[189:190], v[189:190], v[212:213]
	v_mul_f64 v[212:213], v[172:173], s[30:31]
	v_fma_f64 v[199:200], v[185:186], s[14:15], v[197:198]
	v_fma_f64 v[197:198], v[185:186], s[14:15], -v[197:198]
	v_fma_f64 v[214:215], v[182:183], s[34:35], -v[212:213]
	v_fma_f64 v[212:213], v[182:183], s[34:35], v[212:213]
	v_add_f64 v[197:198], v[197:198], v[216:217]
	v_mul_f64 v[216:217], v[174:175], s[30:31]
	v_add_f64 v[199:200], v[199:200], v[218:219]
	v_add_f64 v[214:215], v[214:215], v[222:223]
	v_add_f64 v[212:213], v[212:213], v[220:221]
	v_mul_f64 v[220:221], v[172:173], s[36:37]
	v_fma_f64 v[218:219], v[185:186], s[34:35], v[216:217]
	v_fma_f64 v[216:217], v[185:186], s[34:35], -v[216:217]
	v_fma_f64 v[222:223], v[182:183], s[28:29], -v[220:221]
	v_fma_f64 v[220:221], v[182:183], s[28:29], v[220:221]
	v_add_f64 v[216:217], v[216:217], v[224:225]
	v_mul_f64 v[224:225], v[174:175], s[36:37]
	v_add_f64 v[218:219], v[218:219], v[226:227]
	v_add_f64 v[222:223], v[222:223], v[230:231]
	;; [unrolled: 1-line block ×3, first 2 shown]
	v_mul_f64 v[228:229], v[172:173], s[20:21]
	v_fma_f64 v[226:227], v[185:186], s[28:29], v[224:225]
	v_fma_f64 v[224:225], v[185:186], s[28:29], -v[224:225]
	v_mul_f64 v[172:173], v[172:173], s[38:39]
	v_fma_f64 v[230:231], v[182:183], s[2:3], -v[228:229]
	v_fma_f64 v[228:229], v[182:183], s[2:3], v[228:229]
	v_add_f64 v[224:225], v[224:225], v[232:233]
	v_mul_f64 v[232:233], v[174:175], s[20:21]
	v_mul_f64 v[174:175], v[174:175], s[38:39]
	v_add_f64 v[226:227], v[226:227], v[234:235]
	v_add_f64 v[230:231], v[230:231], v[238:239]
	;; [unrolled: 1-line block ×3, first 2 shown]
	v_fma_f64 v[236:237], v[182:183], s[22:23], -v[172:173]
	v_fma_f64 v[172:173], v[182:183], s[22:23], v[172:173]
	v_fma_f64 v[238:239], v[185:186], s[22:23], v[174:175]
	;; [unrolled: 1-line block ×3, first 2 shown]
	v_fma_f64 v[232:233], v[185:186], s[2:3], -v[232:233]
	v_add_f64 v[236:237], v[236:237], v[244:245]
	v_add_f64 v[136:137], v[172:173], v[136:137]
	v_fma_f64 v[172:173], v[185:186], s[22:23], -v[174:175]
	v_add_f64 v[174:175], v[164:165], v[168:169]
	v_add_f64 v[164:165], v[164:165], -v[168:169]
	v_add_f64 v[232:233], v[232:233], v[240:241]
	v_add_f64 v[234:235], v[234:235], v[242:243]
	;; [unrolled: 1-line block ×5, first 2 shown]
	v_mul_f64 v[168:169], v[164:165], s[6:7]
	v_add_f64 v[170:171], v[170:171], -v[176:177]
	v_fma_f64 v[176:177], v[172:173], s[2:3], -v[168:169]
	v_fma_f64 v[168:169], v[172:173], s[2:3], v[168:169]
	v_add_f64 v[176:177], v[176:177], v[180:181]
	v_mul_f64 v[180:181], v[170:171], s[6:7]
	v_add_f64 v[168:169], v[168:169], v[178:179]
	v_fma_f64 v[182:183], v[174:175], s[2:3], v[180:181]
	v_fma_f64 v[178:179], v[174:175], s[2:3], -v[180:181]
	v_mul_f64 v[180:181], v[164:165], s[30:31]
	v_add_f64 v[182:183], v[182:183], v[191:192]
	v_add_f64 v[178:179], v[178:179], v[187:188]
	v_fma_f64 v[185:186], v[172:173], s[34:35], -v[180:181]
	v_fma_f64 v[180:181], v[172:173], s[34:35], v[180:181]
	v_mul_f64 v[187:188], v[170:171], s[30:31]
	v_add_f64 v[185:186], v[185:186], v[193:194]
	v_add_f64 v[180:181], v[180:181], v[189:190]
	v_mul_f64 v[189:190], v[164:165], s[40:41]
	v_fma_f64 v[191:192], v[174:175], s[34:35], v[187:188]
	v_fma_f64 v[187:188], v[174:175], s[34:35], -v[187:188]
	v_fma_f64 v[193:194], v[172:173], s[14:15], -v[189:190]
	v_fma_f64 v[189:190], v[172:173], s[14:15], v[189:190]
	v_add_f64 v[187:188], v[187:188], v[197:198]
	v_mul_f64 v[197:198], v[170:171], s[40:41]
	v_add_f64 v[191:192], v[191:192], v[199:200]
	v_add_f64 v[193:194], v[193:194], v[214:215]
	;; [unrolled: 1-line block ×3, first 2 shown]
	v_mul_f64 v[212:213], v[164:165], s[38:39]
	v_fma_f64 v[199:200], v[174:175], s[14:15], v[197:198]
	v_fma_f64 v[197:198], v[174:175], s[14:15], -v[197:198]
	v_fma_f64 v[214:215], v[172:173], s[22:23], -v[212:213]
	v_fma_f64 v[212:213], v[172:173], s[22:23], v[212:213]
	v_add_f64 v[197:198], v[197:198], v[216:217]
	v_mul_f64 v[216:217], v[170:171], s[38:39]
	v_add_f64 v[199:200], v[199:200], v[218:219]
	v_add_f64 v[214:215], v[214:215], v[222:223]
	;; [unrolled: 1-line block ×3, first 2 shown]
	v_mul_f64 v[220:221], v[164:165], s[18:19]
	v_fma_f64 v[218:219], v[174:175], s[22:23], v[216:217]
	v_fma_f64 v[216:217], v[174:175], s[22:23], -v[216:217]
	v_mul_f64 v[164:165], v[164:165], s[26:27]
	v_fma_f64 v[222:223], v[172:173], s[16:17], -v[220:221]
	v_fma_f64 v[220:221], v[172:173], s[16:17], v[220:221]
	v_add_f64 v[216:217], v[216:217], v[224:225]
	v_mul_f64 v[224:225], v[170:171], s[18:19]
	v_mul_f64 v[170:171], v[170:171], s[26:27]
	v_add_f64 v[218:219], v[218:219], v[226:227]
	v_add_f64 v[222:223], v[222:223], v[230:231]
	;; [unrolled: 1-line block ×3, first 2 shown]
	v_fma_f64 v[228:229], v[172:173], s[28:29], -v[164:165]
	v_fma_f64 v[164:165], v[172:173], s[28:29], v[164:165]
	v_fma_f64 v[230:231], v[174:175], s[28:29], v[170:171]
	;; [unrolled: 1-line block ×3, first 2 shown]
	v_fma_f64 v[224:225], v[174:175], s[16:17], -v[224:225]
	v_add_f64 v[228:229], v[228:229], v[236:237]
	v_add_f64 v[136:137], v[164:165], v[136:137]
	v_fma_f64 v[164:165], v[174:175], s[28:29], -v[170:171]
	v_add_f64 v[170:171], v[154:155], v[162:163]
	v_add_f64 v[154:155], v[154:155], -v[162:163]
	v_add_f64 v[224:225], v[224:225], v[232:233]
	v_add_f64 v[226:227], v[226:227], v[234:235]
	;; [unrolled: 1-line block ×5, first 2 shown]
	v_add_f64 v[158:159], v[158:159], -v[166:167]
	v_mul_f64 v[162:163], v[154:155], s[12:13]
	v_mul_f64 v[172:173], v[158:159], s[12:13]
	v_fma_f64 v[166:167], v[164:165], s[14:15], -v[162:163]
	v_fma_f64 v[162:163], v[164:165], s[14:15], v[162:163]
	v_fma_f64 v[174:175], v[170:171], s[14:15], v[172:173]
	v_add_f64 v[166:167], v[166:167], v[176:177]
	v_add_f64 v[162:163], v[162:163], v[168:169]
	v_fma_f64 v[168:169], v[170:171], s[14:15], -v[172:173]
	v_mul_f64 v[172:173], v[154:155], s[36:37]
	v_add_f64 v[174:175], v[174:175], v[182:183]
	v_add_f64 v[168:169], v[168:169], v[178:179]
	v_fma_f64 v[176:177], v[164:165], s[28:29], -v[172:173]
	v_mul_f64 v[178:179], v[158:159], s[36:37]
	v_fma_f64 v[172:173], v[164:165], s[28:29], v[172:173]
	v_add_f64 v[176:177], v[176:177], v[185:186]
	v_fma_f64 v[182:183], v[170:171], s[28:29], v[178:179]
	v_add_f64 v[172:173], v[172:173], v[180:181]
	v_fma_f64 v[178:179], v[170:171], s[28:29], -v[178:179]
	v_mul_f64 v[180:181], v[154:155], s[38:39]
	v_add_f64 v[182:183], v[182:183], v[191:192]
	v_add_f64 v[178:179], v[178:179], v[187:188]
	v_fma_f64 v[185:186], v[164:165], s[22:23], -v[180:181]
	v_mul_f64 v[187:188], v[158:159], s[38:39]
	v_fma_f64 v[180:181], v[164:165], s[22:23], v[180:181]
	v_add_f64 v[185:186], v[185:186], v[193:194]
	v_fma_f64 v[191:192], v[170:171], s[22:23], v[187:188]
	;; [unrolled: 10-line block ×3, first 2 shown]
	v_add_f64 v[212:213], v[189:190], v[212:213]
	v_fma_f64 v[189:190], v[170:171], s[2:3], -v[197:198]
	v_add_f64 v[199:200], v[199:200], v[218:219]
	v_add_f64 v[197:198], v[189:190], v[216:217]
	v_mul_f64 v[189:190], v[154:155], s[44:45]
	v_mul_f64 v[216:217], v[158:159], s[44:45]
	;; [unrolled: 1-line block ×4, first 2 shown]
	v_fma_f64 v[214:215], v[164:165], s[34:35], -v[189:190]
	v_fma_f64 v[189:190], v[164:165], s[34:35], v[189:190]
	v_fma_f64 v[218:219], v[170:171], s[34:35], v[216:217]
	v_add_f64 v[214:215], v[214:215], v[222:223]
	v_add_f64 v[220:221], v[189:190], v[220:221]
	v_fma_f64 v[189:190], v[170:171], s[34:35], -v[216:217]
	v_add_f64 v[218:219], v[218:219], v[226:227]
	v_add_f64 v[216:217], v[189:190], v[224:225]
	v_fma_f64 v[189:190], v[164:165], s[16:17], -v[154:155]
	v_fma_f64 v[154:155], v[164:165], s[16:17], v[154:155]
	v_add_f64 v[164:165], v[148:149], v[150:151]
	v_add_f64 v[148:149], v[148:149], -v[150:151]
	v_add_f64 v[222:223], v[189:190], v[228:229]
	v_add_f64 v[136:137], v[154:155], v[136:137]
	v_fma_f64 v[154:155], v[170:171], s[16:17], -v[158:159]
	v_mul_f64 v[150:151], v[148:149], s[26:27]
	v_fma_f64 v[189:190], v[170:171], s[16:17], v[158:159]
	v_add_f64 v[138:139], v[154:155], v[138:139]
	v_add_f64 v[154:155], v[152:153], v[156:157]
	v_add_f64 v[152:153], v[152:153], -v[156:157]
	v_add_f64 v[224:225], v[189:190], v[230:231]
	v_fma_f64 v[156:157], v[154:155], s[28:29], -v[150:151]
	v_fma_f64 v[150:151], v[154:155], s[28:29], v[150:151]
	v_add_f64 v[226:227], v[156:157], v[166:167]
	v_mul_f64 v[156:157], v[152:153], s[26:27]
	v_add_f64 v[150:151], v[150:151], v[162:163]
	v_fma_f64 v[158:159], v[164:165], s[28:29], v[156:157]
	v_fma_f64 v[156:157], v[164:165], s[28:29], -v[156:157]
	v_add_f64 v[228:229], v[158:159], v[174:175]
	v_add_f64 v[230:231], v[156:157], v[168:169]
	v_mul_f64 v[156:157], v[148:149], s[20:21]
	v_fma_f64 v[158:159], v[154:155], s[2:3], -v[156:157]
	v_fma_f64 v[156:157], v[154:155], s[2:3], v[156:157]
	v_add_f64 v[232:233], v[158:159], v[176:177]
	v_mul_f64 v[158:159], v[152:153], s[20:21]
	v_add_f64 v[236:237], v[156:157], v[172:173]
	v_add_f64 v[172:173], v[144:145], -v[146:147]
	v_fma_f64 v[156:157], v[164:165], s[2:3], -v[158:159]
	v_fma_f64 v[162:163], v[164:165], s[2:3], v[158:159]
	v_add_f64 v[238:239], v[156:157], v[178:179]
	v_mul_f64 v[156:157], v[148:149], s[18:19]
	v_add_f64 v[234:235], v[162:163], v[182:183]
	v_fma_f64 v[158:159], v[154:155], s[16:17], -v[156:157]
	v_fma_f64 v[156:157], v[154:155], s[16:17], v[156:157]
	v_add_f64 v[240:241], v[158:159], v[185:186]
	v_mul_f64 v[158:159], v[152:153], s[18:19]
	v_add_f64 v[156:157], v[156:157], v[180:181]
	v_fma_f64 v[162:163], v[164:165], s[16:17], v[158:159]
	v_fma_f64 v[158:159], v[164:165], s[16:17], -v[158:159]
	v_add_f64 v[242:243], v[162:163], v[191:192]
	v_mul_f64 v[162:163], v[148:149], s[44:45]
	v_add_f64 v[158:159], v[158:159], v[187:188]
	v_fma_f64 v[166:167], v[154:155], s[34:35], -v[162:163]
	v_fma_f64 v[162:163], v[154:155], s[34:35], v[162:163]
	v_add_f64 v[189:190], v[166:167], v[193:194]
	v_mul_f64 v[166:167], v[152:153], s[44:45]
	v_add_f64 v[187:188], v[162:163], v[212:213]
	v_add_f64 v[193:194], v[140:141], -v[142:143]
	v_fma_f64 v[162:163], v[164:165], s[34:35], -v[166:167]
	v_fma_f64 v[168:169], v[164:165], s[34:35], v[166:167]
	v_add_f64 v[185:186], v[162:163], v[197:198]
	v_mul_f64 v[162:163], v[148:149], s[38:39]
	v_add_f64 v[191:192], v[168:169], v[199:200]
	v_mul_f64 v[148:149], v[148:149], s[12:13]
	v_mul_f64 v[197:198], v[193:194], s[26:27]
	;; [unrolled: 1-line block ×3, first 2 shown]
	v_fma_f64 v[166:167], v[154:155], s[22:23], -v[162:163]
	v_fma_f64 v[162:163], v[154:155], s[22:23], v[162:163]
	v_add_f64 v[180:181], v[166:167], v[214:215]
	v_mul_f64 v[166:167], v[152:153], s[38:39]
	v_add_f64 v[178:179], v[162:163], v[220:221]
	v_mul_f64 v[152:153], v[152:153], s[12:13]
	v_fma_f64 v[168:169], v[164:165], s[22:23], v[166:167]
	v_fma_f64 v[162:163], v[164:165], s[22:23], -v[166:167]
	v_add_f64 v[182:183], v[168:169], v[218:219]
	v_add_f64 v[176:177], v[162:163], v[216:217]
	v_fma_f64 v[162:163], v[154:155], s[14:15], -v[148:149]
	v_fma_f64 v[148:149], v[154:155], s[14:15], v[148:149]
	v_add_f64 v[168:169], v[144:145], v[146:147]
	v_add_f64 v[174:175], v[162:163], v[222:223]
	v_fma_f64 v[162:163], v[164:165], s[14:15], v[152:153]
	v_add_f64 v[166:167], v[148:149], v[136:137]
	v_fma_f64 v[136:137], v[164:165], s[14:15], -v[152:153]
	v_add_f64 v[164:165], v[140:141], v[142:143]
	v_fma_f64 v[152:153], v[168:169], s[28:29], -v[197:198]
	v_fma_f64 v[197:198], v[168:169], s[28:29], v[197:198]
	v_mul_f64 v[140:141], v[193:194], s[30:31]
	v_mul_f64 v[142:143], v[172:173], s[30:31]
	;; [unrolled: 1-line block ×3, first 2 shown]
	v_add_f64 v[170:171], v[162:163], v[224:225]
	v_add_f64 v[162:163], v[136:137], v[138:139]
	v_fma_f64 v[154:155], v[164:165], s[28:29], v[199:200]
	v_add_f64 v[152:153], v[152:153], v[240:241]
	v_add_f64 v[156:157], v[197:198], v[156:157]
	v_fma_f64 v[197:198], v[164:165], s[28:29], -v[199:200]
	v_fma_f64 v[136:137], v[168:169], s[34:35], -v[140:141]
	v_fma_f64 v[140:141], v[168:169], s[34:35], v[140:141]
	v_fma_f64 v[138:139], v[164:165], s[34:35], v[142:143]
	v_fma_f64 v[144:145], v[168:169], s[22:23], -v[148:149]
	v_fma_f64 v[142:143], v[164:165], s[34:35], -v[142:143]
	v_fma_f64 v[148:149], v[168:169], s[22:23], v[148:149]
	v_add_f64 v[154:155], v[154:155], v[242:243]
	v_add_f64 v[158:159], v[197:198], v[158:159]
	v_mul_f64 v[197:198], v[193:194], s[42:43]
	v_add_f64 v[140:141], v[140:141], v[150:151]
	v_mul_f64 v[150:151], v[172:173], s[38:39]
	v_add_f64 v[136:137], v[136:137], v[226:227]
	v_add_f64 v[138:139], v[138:139], v[228:229]
	;; [unrolled: 1-line block ×5, first 2 shown]
	v_fma_f64 v[199:200], v[168:169], s[16:17], -v[197:198]
	v_fma_f64 v[197:198], v[168:169], s[16:17], v[197:198]
	v_fma_f64 v[146:147], v[164:165], s[22:23], v[150:151]
	v_fma_f64 v[150:151], v[164:165], s[22:23], -v[150:151]
	v_add_f64 v[189:190], v[199:200], v[189:190]
	v_mul_f64 v[199:200], v[172:173], s[42:43]
	v_add_f64 v[197:198], v[197:198], v[187:188]
	v_add_f64 v[146:147], v[146:147], v[234:235]
	;; [unrolled: 1-line block ×3, first 2 shown]
	v_fma_f64 v[187:188], v[164:165], s[16:17], -v[199:200]
	v_fma_f64 v[212:213], v[164:165], s[16:17], v[199:200]
	v_add_f64 v[199:200], v[187:188], v[185:186]
	v_mul_f64 v[185:186], v[193:194], s[12:13]
	v_add_f64 v[191:192], v[212:213], v[191:192]
	v_fma_f64 v[187:188], v[168:169], s[14:15], -v[185:186]
	v_fma_f64 v[185:186], v[168:169], s[14:15], v[185:186]
	v_add_f64 v[180:181], v[187:188], v[180:181]
	v_mul_f64 v[187:188], v[172:173], s[12:13]
	v_add_f64 v[185:186], v[185:186], v[178:179]
	v_mul_f64 v[172:173], v[172:173], s[20:21]
	v_fma_f64 v[178:179], v[164:165], s[14:15], -v[187:188]
	v_fma_f64 v[212:213], v[164:165], s[14:15], v[187:188]
	v_add_f64 v[187:188], v[178:179], v[176:177]
	v_mul_f64 v[178:179], v[193:194], s[20:21]
	v_add_f64 v[182:183], v[212:213], v[182:183]
	v_fma_f64 v[176:177], v[168:169], s[2:3], -v[178:179]
	v_fma_f64 v[168:169], v[168:169], s[2:3], v[178:179]
	v_add_f64 v[174:175], v[176:177], v[174:175]
	v_fma_f64 v[176:177], v[164:165], s[2:3], v[172:173]
	v_fma_f64 v[164:165], v[164:165], s[2:3], -v[172:173]
	v_add_f64 v[166:167], v[168:169], v[166:167]
	v_add_f64 v[176:177], v[176:177], v[170:171]
	v_add_f64 v[168:169], v[164:165], v[162:163]
	ds_write_b128 v202, v[132:135]
	ds_write_b128 v202, v[136:139] offset:416
	ds_write_b128 v202, v[144:147] offset:832
	;; [unrolled: 1-line block ×12, first 2 shown]
	s_waitcnt lgkmcnt(0)
	s_barrier
	buffer_gl0_inv
	global_load_dwordx4 v[136:139], v[160:161], off offset:1312
	ds_read_b128 v[132:135], v202
	v_add_co_u32 v144, s0, 0x1520, v195
	v_add_co_ci_u32_e64 v145, s0, 0, v196, s0
	s_waitcnt vmcnt(0) lgkmcnt(0)
	v_mul_f64 v[140:141], v[134:135], v[138:139]
	v_fma_f64 v[140:141], v[132:133], v[136:137], -v[140:141]
	v_mul_f64 v[132:133], v[132:133], v[138:139]
	v_fma_f64 v[142:143], v[134:135], v[136:137], v[132:133]
	global_load_dwordx4 v[136:139], v[144:145], off offset:416
	ds_read_b128 v[132:135], v202 offset:416
	ds_write_b128 v202, v[140:143]
	s_waitcnt vmcnt(0) lgkmcnt(1)
	v_mul_f64 v[140:141], v[134:135], v[138:139]
	v_fma_f64 v[140:141], v[132:133], v[136:137], -v[140:141]
	v_mul_f64 v[132:133], v[132:133], v[138:139]
	v_fma_f64 v[142:143], v[134:135], v[136:137], v[132:133]
	global_load_dwordx4 v[136:139], v[144:145], off offset:832
	ds_read_b128 v[132:135], v202 offset:832
	ds_write_b128 v202, v[140:143] offset:416
	s_waitcnt vmcnt(0) lgkmcnt(1)
	v_mul_f64 v[140:141], v[134:135], v[138:139]
	v_fma_f64 v[140:141], v[132:133], v[136:137], -v[140:141]
	v_mul_f64 v[132:133], v[132:133], v[138:139]
	v_fma_f64 v[142:143], v[134:135], v[136:137], v[132:133]
	global_load_dwordx4 v[136:139], v[144:145], off offset:1248
	ds_read_b128 v[132:135], v202 offset:1248
	ds_write_b128 v202, v[140:143] offset:832
	s_waitcnt vmcnt(0) lgkmcnt(1)
	v_mul_f64 v[140:141], v[134:135], v[138:139]
	v_fma_f64 v[140:141], v[132:133], v[136:137], -v[140:141]
	v_mul_f64 v[132:133], v[132:133], v[138:139]
	v_fma_f64 v[142:143], v[134:135], v[136:137], v[132:133]
	global_load_dwordx4 v[136:139], v[144:145], off offset:1664
	ds_read_b128 v[132:135], v202 offset:1664
	v_add_co_u32 v144, s0, 0x1800, v195
	v_add_co_ci_u32_e64 v145, s0, 0, v196, s0
	ds_write_b128 v202, v[140:143] offset:1248
	s_waitcnt vmcnt(0) lgkmcnt(1)
	v_mul_f64 v[140:141], v[134:135], v[138:139]
	v_fma_f64 v[140:141], v[132:133], v[136:137], -v[140:141]
	v_mul_f64 v[132:133], v[132:133], v[138:139]
	v_fma_f64 v[142:143], v[134:135], v[136:137], v[132:133]
	global_load_dwordx4 v[136:139], v[144:145], off offset:1344
	ds_read_b128 v[132:135], v202 offset:2080
	ds_write_b128 v202, v[140:143] offset:1664
	s_waitcnt vmcnt(0) lgkmcnt(1)
	v_mul_f64 v[140:141], v[134:135], v[138:139]
	v_fma_f64 v[140:141], v[132:133], v[136:137], -v[140:141]
	v_mul_f64 v[132:133], v[132:133], v[138:139]
	v_fma_f64 v[142:143], v[134:135], v[136:137], v[132:133]
	global_load_dwordx4 v[136:139], v[144:145], off offset:1760
	ds_read_b128 v[132:135], v202 offset:2496
	v_add_co_u32 v144, s0, 0x2000, v195
	v_add_co_ci_u32_e64 v145, s0, 0, v196, s0
	ds_write_b128 v202, v[140:143] offset:2080
	s_waitcnt vmcnt(0) lgkmcnt(1)
	v_mul_f64 v[140:141], v[134:135], v[138:139]
	v_fma_f64 v[140:141], v[132:133], v[136:137], -v[140:141]
	v_mul_f64 v[132:133], v[132:133], v[138:139]
	v_fma_f64 v[142:143], v[134:135], v[136:137], v[132:133]
	global_load_dwordx4 v[136:139], v[144:145], off offset:128
	ds_read_b128 v[132:135], v202 offset:2912
	ds_write_b128 v202, v[140:143] offset:2496
	s_waitcnt vmcnt(0) lgkmcnt(1)
	v_mul_f64 v[140:141], v[134:135], v[138:139]
	v_fma_f64 v[140:141], v[132:133], v[136:137], -v[140:141]
	v_mul_f64 v[132:133], v[132:133], v[138:139]
	v_fma_f64 v[142:143], v[134:135], v[136:137], v[132:133]
	global_load_dwordx4 v[136:139], v[144:145], off offset:544
	ds_read_b128 v[132:135], v202 offset:3328
	;; [unrolled: 8-line block ×5, first 2 shown]
	ds_write_b128 v202, v[140:143] offset:4160
	s_waitcnt vmcnt(0) lgkmcnt(1)
	v_mul_f64 v[140:141], v[134:135], v[138:139]
	v_fma_f64 v[140:141], v[132:133], v[136:137], -v[140:141]
	v_mul_f64 v[132:133], v[132:133], v[138:139]
	v_fma_f64 v[142:143], v[134:135], v[136:137], v[132:133]
	v_add_co_u32 v136, s0, 0x2800, v195
	v_add_co_ci_u32_e64 v137, s0, 0, v196, s0
	ds_read_b128 v[132:135], v202 offset:4992
	global_load_dwordx4 v[136:139], v[136:137], off offset:160
	ds_write_b128 v202, v[140:143] offset:4576
	s_waitcnt vmcnt(0) lgkmcnt(1)
	v_mul_f64 v[140:141], v[134:135], v[138:139]
	v_fma_f64 v[140:141], v[132:133], v[136:137], -v[140:141]
	v_mul_f64 v[132:133], v[132:133], v[138:139]
	v_fma_f64 v[142:143], v[134:135], v[136:137], v[132:133]
	ds_write_b128 v202, v[140:143] offset:4992
	s_waitcnt lgkmcnt(0)
	s_barrier
	buffer_gl0_inv
	ds_read_b128 v[144:147], v202
	ds_read_b128 v[148:151], v202 offset:416
	ds_read_b128 v[152:155], v202 offset:832
	;; [unrolled: 1-line block ×12, first 2 shown]
	s_waitcnt lgkmcnt(0)
	s_barrier
	buffer_gl0_inv
	v_add_f64 v[132:133], v[144:145], v[148:149]
	v_add_f64 v[134:135], v[146:147], v[150:151]
	;; [unrolled: 1-line block ×3, first 2 shown]
	v_add_f64 v[150:151], v[150:151], -v[187:188]
	v_add_f64 v[189:190], v[148:149], v[185:186]
	v_add_f64 v[148:149], v[148:149], -v[185:186]
	v_add_f64 v[132:133], v[132:133], v[152:153]
	v_add_f64 v[134:135], v[134:135], v[154:155]
	v_mul_f64 v[193:194], v[191:192], s[22:23]
	v_mul_f64 v[197:198], v[150:151], s[18:19]
	;; [unrolled: 1-line block ×10, first 2 shown]
	v_add_f64 v[132:133], v[132:133], v[156:157]
	v_add_f64 v[134:135], v[134:135], v[158:159]
	v_fma_f64 v[195:196], v[148:149], s[38:39], v[193:194]
	v_fma_f64 v[199:200], v[189:190], s[16:17], v[197:198]
	v_fma_f64 v[197:198], v[189:190], s[16:17], -v[197:198]
	v_fma_f64 v[218:219], v[189:190], s[2:3], v[216:217]
	v_fma_f64 v[216:217], v[189:190], s[2:3], -v[216:217]
	;; [unrolled: 2-line block ×4, first 2 shown]
	v_fma_f64 v[193:194], v[148:149], s[24:25], v[193:194]
	v_fma_f64 v[214:215], v[148:149], s[42:43], v[212:213]
	v_add_f64 v[132:133], v[132:133], v[160:161]
	v_add_f64 v[134:135], v[134:135], v[162:163]
	v_fma_f64 v[212:213], v[148:149], s[18:19], v[212:213]
	v_fma_f64 v[222:223], v[148:149], s[20:21], v[220:221]
	;; [unrolled: 1-line block ×9, first 2 shown]
	v_add_f64 v[195:196], v[146:147], v[195:196]
	v_add_f64 v[199:200], v[144:145], v[199:200]
	;; [unrolled: 1-line block ×23, first 2 shown]
	v_add_f64 v[152:153], v[152:153], -v[180:181]
	v_add_f64 v[132:133], v[132:133], v[136:137]
	v_add_f64 v[134:135], v[134:135], v[138:139]
	;; [unrolled: 1-line block ×13, first 2 shown]
	v_mul_f64 v[185:186], v[150:151], s[24:25]
	v_mul_f64 v[150:151], v[150:151], s[30:31]
	v_add_f64 v[134:135], v[134:135], v[187:188]
	v_fma_f64 v[187:188], v[189:190], s[22:23], v[185:186]
	v_fma_f64 v[185:186], v[189:190], s[22:23], -v[185:186]
	v_fma_f64 v[240:241], v[189:190], s[34:35], v[150:151]
	v_fma_f64 v[150:151], v[189:190], s[34:35], -v[150:151]
	v_add_f64 v[187:188], v[144:145], v[187:188]
	v_add_f64 v[185:186], v[144:145], v[185:186]
	;; [unrolled: 1-line block ×5, first 2 shown]
	v_add_f64 v[154:155], v[154:155], -v[182:183]
	v_mul_f64 v[180:181], v[154:155], s[18:19]
	v_fma_f64 v[182:183], v[148:149], s[16:17], v[180:181]
	v_fma_f64 v[180:181], v[148:149], s[16:17], -v[180:181]
	v_add_f64 v[182:183], v[182:183], v[187:188]
	v_mul_f64 v[187:188], v[150:151], s[16:17]
	v_add_f64 v[180:181], v[180:181], v[185:186]
	v_fma_f64 v[189:190], v[152:153], s[42:43], v[187:188]
	v_fma_f64 v[185:186], v[152:153], s[18:19], v[187:188]
	v_mul_f64 v[187:188], v[154:155], s[12:13]
	v_add_f64 v[189:190], v[189:190], v[195:196]
	v_add_f64 v[185:186], v[185:186], v[193:194]
	v_fma_f64 v[191:192], v[148:149], s[14:15], v[187:188]
	v_fma_f64 v[187:188], v[148:149], s[14:15], -v[187:188]
	v_mul_f64 v[193:194], v[150:151], s[14:15]
	v_add_f64 v[191:192], v[191:192], v[199:200]
	v_add_f64 v[187:188], v[187:188], v[197:198]
	v_mul_f64 v[197:198], v[154:155], s[30:31]
	v_fma_f64 v[195:196], v[152:153], s[40:41], v[193:194]
	v_fma_f64 v[193:194], v[152:153], s[12:13], v[193:194]
	v_fma_f64 v[199:200], v[148:149], s[34:35], v[197:198]
	v_fma_f64 v[197:198], v[148:149], s[34:35], -v[197:198]
	v_add_f64 v[193:194], v[193:194], v[212:213]
	v_mul_f64 v[212:213], v[150:151], s[34:35]
	v_add_f64 v[195:196], v[195:196], v[214:215]
	v_add_f64 v[199:200], v[199:200], v[218:219]
	v_add_f64 v[197:198], v[197:198], v[216:217]
	v_mul_f64 v[216:217], v[154:155], s[36:37]
	v_fma_f64 v[214:215], v[152:153], s[44:45], v[212:213]
	v_fma_f64 v[212:213], v[152:153], s[30:31], v[212:213]
	;; [unrolled: 1-line block ×3, first 2 shown]
	v_fma_f64 v[216:217], v[148:149], s[28:29], -v[216:217]
	v_add_f64 v[212:213], v[212:213], v[220:221]
	v_mul_f64 v[220:221], v[150:151], s[28:29]
	v_add_f64 v[214:215], v[214:215], v[222:223]
	v_add_f64 v[218:219], v[218:219], v[226:227]
	;; [unrolled: 1-line block ×3, first 2 shown]
	v_mul_f64 v[224:225], v[154:155], s[20:21]
	v_fma_f64 v[222:223], v[152:153], s[26:27], v[220:221]
	v_fma_f64 v[220:221], v[152:153], s[36:37], v[220:221]
	v_mul_f64 v[154:155], v[154:155], s[38:39]
	v_fma_f64 v[226:227], v[148:149], s[2:3], v[224:225]
	v_fma_f64 v[224:225], v[148:149], s[2:3], -v[224:225]
	v_add_f64 v[220:221], v[220:221], v[228:229]
	v_mul_f64 v[228:229], v[150:151], s[2:3]
	v_mul_f64 v[150:151], v[150:151], s[22:23]
	v_add_f64 v[222:223], v[222:223], v[230:231]
	v_add_f64 v[226:227], v[226:227], v[234:235]
	;; [unrolled: 1-line block ×3, first 2 shown]
	v_fma_f64 v[232:233], v[148:149], s[22:23], v[154:155]
	v_fma_f64 v[148:149], v[148:149], s[22:23], -v[154:155]
	v_add_f64 v[154:155], v[158:159], -v[178:179]
	v_fma_f64 v[230:231], v[152:153], s[6:7], v[228:229]
	v_fma_f64 v[228:229], v[152:153], s[20:21], v[228:229]
	;; [unrolled: 1-line block ×3, first 2 shown]
	v_add_f64 v[232:233], v[232:233], v[240:241]
	v_add_f64 v[144:145], v[148:149], v[144:145]
	v_fma_f64 v[148:149], v[152:153], s[38:39], v[150:151]
	v_add_f64 v[152:153], v[156:157], -v[176:177]
	v_add_f64 v[150:151], v[158:159], v[178:179]
	v_add_f64 v[228:229], v[228:229], v[236:237]
	;; [unrolled: 1-line block ×6, first 2 shown]
	v_mul_f64 v[156:157], v[154:155], s[6:7]
	v_mul_f64 v[176:177], v[150:151], s[2:3]
	v_fma_f64 v[158:159], v[148:149], s[2:3], v[156:157]
	v_fma_f64 v[156:157], v[148:149], s[2:3], -v[156:157]
	v_fma_f64 v[178:179], v[152:153], s[20:21], v[176:177]
	v_fma_f64 v[176:177], v[152:153], s[6:7], v[176:177]
	v_add_f64 v[158:159], v[158:159], v[182:183]
	v_add_f64 v[156:157], v[156:157], v[180:181]
	v_mul_f64 v[180:181], v[154:155], s[30:31]
	v_add_f64 v[176:177], v[176:177], v[185:186]
	v_mul_f64 v[185:186], v[150:151], s[34:35]
	v_add_f64 v[178:179], v[178:179], v[189:190]
	v_fma_f64 v[182:183], v[148:149], s[34:35], v[180:181]
	v_fma_f64 v[180:181], v[148:149], s[34:35], -v[180:181]
	v_fma_f64 v[189:190], v[152:153], s[44:45], v[185:186]
	v_fma_f64 v[185:186], v[152:153], s[30:31], v[185:186]
	v_add_f64 v[182:183], v[182:183], v[191:192]
	v_add_f64 v[180:181], v[180:181], v[187:188]
	v_mul_f64 v[187:188], v[154:155], s[40:41]
	v_add_f64 v[185:186], v[185:186], v[193:194]
	v_mul_f64 v[193:194], v[150:151], s[14:15]
	v_add_f64 v[189:190], v[189:190], v[195:196]
	;; [unrolled: 10-line block ×3, first 2 shown]
	v_fma_f64 v[199:200], v[148:149], s[22:23], v[197:198]
	v_fma_f64 v[197:198], v[148:149], s[22:23], -v[197:198]
	v_fma_f64 v[214:215], v[152:153], s[24:25], v[212:213]
	v_fma_f64 v[212:213], v[152:153], s[38:39], v[212:213]
	v_add_f64 v[199:200], v[199:200], v[218:219]
	v_add_f64 v[197:198], v[197:198], v[216:217]
	v_mul_f64 v[216:217], v[154:155], s[18:19]
	v_mul_f64 v[154:155], v[154:155], s[26:27]
	v_add_f64 v[212:213], v[212:213], v[220:221]
	v_mul_f64 v[220:221], v[150:151], s[16:17]
	v_mul_f64 v[150:151], v[150:151], s[28:29]
	v_add_f64 v[214:215], v[214:215], v[222:223]
	v_fma_f64 v[218:219], v[148:149], s[16:17], v[216:217]
	v_fma_f64 v[216:217], v[148:149], s[16:17], -v[216:217]
	v_fma_f64 v[222:223], v[152:153], s[42:43], v[220:221]
	v_fma_f64 v[220:221], v[152:153], s[18:19], v[220:221]
	v_add_f64 v[218:219], v[218:219], v[226:227]
	v_add_f64 v[216:217], v[216:217], v[224:225]
	v_fma_f64 v[224:225], v[148:149], s[28:29], v[154:155]
	v_fma_f64 v[148:149], v[148:149], s[28:29], -v[154:155]
	v_add_f64 v[154:155], v[162:163], -v[174:175]
	v_fma_f64 v[226:227], v[152:153], s[36:37], v[150:151]
	v_add_f64 v[220:221], v[220:221], v[228:229]
	v_add_f64 v[222:223], v[222:223], v[230:231]
	;; [unrolled: 1-line block ×4, first 2 shown]
	v_fma_f64 v[148:149], v[152:153], s[26:27], v[150:151]
	v_add_f64 v[152:153], v[160:161], -v[172:173]
	v_add_f64 v[150:151], v[162:163], v[174:175]
	v_add_f64 v[226:227], v[226:227], v[234:235]
	;; [unrolled: 1-line block ×3, first 2 shown]
	v_add_f64 v[166:167], v[166:167], -v[170:171]
	v_add_f64 v[232:233], v[164:165], v[168:169]
	v_add_f64 v[164:165], v[164:165], -v[168:169]
	v_add_f64 v[146:147], v[148:149], v[146:147]
	v_add_f64 v[148:149], v[160:161], v[172:173]
	v_mul_f64 v[160:161], v[154:155], s[12:13]
	v_mul_f64 v[170:171], v[234:235], s[34:35]
	;; [unrolled: 1-line block ×3, first 2 shown]
	v_fma_f64 v[162:163], v[148:149], s[14:15], v[160:161]
	v_fma_f64 v[160:161], v[148:149], s[14:15], -v[160:161]
	v_add_f64 v[158:159], v[162:163], v[158:159]
	v_mul_f64 v[162:163], v[150:151], s[14:15]
	v_add_f64 v[156:157], v[160:161], v[156:157]
	v_fma_f64 v[160:161], v[152:153], s[12:13], v[162:163]
	v_fma_f64 v[172:173], v[152:153], s[40:41], v[162:163]
	v_mul_f64 v[162:163], v[154:155], s[36:37]
	v_add_f64 v[160:161], v[160:161], v[176:177]
	v_mul_f64 v[176:177], v[150:151], s[28:29]
	v_add_f64 v[172:173], v[172:173], v[178:179]
	v_fma_f64 v[174:175], v[148:149], s[28:29], v[162:163]
	v_fma_f64 v[162:163], v[148:149], s[28:29], -v[162:163]
	v_fma_f64 v[178:179], v[152:153], s[26:27], v[176:177]
	v_fma_f64 v[176:177], v[152:153], s[36:37], v[176:177]
	v_add_f64 v[174:175], v[174:175], v[182:183]
	v_add_f64 v[162:163], v[162:163], v[180:181]
	v_mul_f64 v[180:181], v[154:155], s[38:39]
	v_add_f64 v[178:179], v[178:179], v[189:190]
	v_add_f64 v[176:177], v[176:177], v[185:186]
	v_mul_f64 v[185:186], v[150:151], s[22:23]
	v_fma_f64 v[182:183], v[148:149], s[22:23], v[180:181]
	v_fma_f64 v[180:181], v[148:149], s[22:23], -v[180:181]
	v_fma_f64 v[189:190], v[152:153], s[24:25], v[185:186]
	v_fma_f64 v[185:186], v[152:153], s[38:39], v[185:186]
	v_add_f64 v[182:183], v[182:183], v[191:192]
	v_add_f64 v[180:181], v[180:181], v[187:188]
	;; [unrolled: 1-line block ×4, first 2 shown]
	v_mul_f64 v[185:186], v[154:155], s[6:7]
	v_fma_f64 v[187:188], v[148:149], s[2:3], v[185:186]
	v_fma_f64 v[185:186], v[148:149], s[2:3], -v[185:186]
	v_add_f64 v[199:200], v[187:188], v[199:200]
	v_mul_f64 v[187:188], v[150:151], s[2:3]
	v_add_f64 v[197:198], v[185:186], v[197:198]
	v_fma_f64 v[185:186], v[152:153], s[6:7], v[187:188]
	v_fma_f64 v[189:190], v[152:153], s[20:21], v[187:188]
	v_add_f64 v[212:213], v[185:186], v[212:213]
	v_mul_f64 v[185:186], v[154:155], s[44:45]
	v_mul_f64 v[154:155], v[154:155], s[42:43]
	v_add_f64 v[214:215], v[189:190], v[214:215]
	v_fma_f64 v[187:188], v[148:149], s[34:35], v[185:186]
	v_fma_f64 v[185:186], v[148:149], s[34:35], -v[185:186]
	v_add_f64 v[218:219], v[187:188], v[218:219]
	v_mul_f64 v[187:188], v[150:151], s[34:35]
	v_add_f64 v[216:217], v[185:186], v[216:217]
	v_mul_f64 v[150:151], v[150:151], s[16:17]
	v_fma_f64 v[185:186], v[152:153], s[44:45], v[187:188]
	v_fma_f64 v[189:190], v[152:153], s[30:31], v[187:188]
	v_add_f64 v[220:221], v[185:186], v[220:221]
	v_fma_f64 v[185:186], v[148:149], s[16:17], v[154:155]
	v_fma_f64 v[148:149], v[148:149], s[16:17], -v[154:155]
	v_add_f64 v[222:223], v[189:190], v[222:223]
	v_add_f64 v[224:225], v[185:186], v[224:225]
	;; [unrolled: 1-line block ×3, first 2 shown]
	v_fma_f64 v[144:145], v[152:153], s[42:43], v[150:151]
	v_fma_f64 v[185:186], v[152:153], s[18:19], v[150:151]
	v_add_f64 v[230:231], v[144:145], v[146:147]
	v_mul_f64 v[144:145], v[166:167], s[26:27]
	v_add_f64 v[226:227], v[185:186], v[226:227]
	v_fma_f64 v[146:147], v[232:233], s[28:29], v[144:145]
	v_fma_f64 v[144:145], v[232:233], s[28:29], -v[144:145]
	v_add_f64 v[185:186], v[146:147], v[158:159]
	v_mul_f64 v[146:147], v[234:235], s[28:29]
	v_add_f64 v[189:190], v[144:145], v[156:157]
	v_mul_f64 v[156:157], v[166:167], s[18:19]
	v_mul_f64 v[158:159], v[234:235], s[16:17]
	v_fma_f64 v[144:145], v[164:165], s[26:27], v[146:147]
	v_fma_f64 v[148:149], v[164:165], s[36:37], v[146:147]
	;; [unrolled: 1-line block ×3, first 2 shown]
	v_fma_f64 v[156:157], v[232:233], s[16:17], -v[156:157]
	v_fma_f64 v[154:155], v[164:165], s[42:43], v[158:159]
	v_fma_f64 v[158:159], v[164:165], s[18:19], v[158:159]
	v_add_f64 v[191:192], v[144:145], v[160:161]
	v_mul_f64 v[144:145], v[166:167], s[20:21]
	v_fma_f64 v[160:161], v[232:233], s[34:35], v[168:169]
	v_fma_f64 v[168:169], v[232:233], s[34:35], -v[168:169]
	v_add_f64 v[152:153], v[152:153], v[182:183]
	v_add_f64 v[187:188], v[148:149], v[172:173]
	v_add_f64 v[156:157], v[156:157], v[180:181]
	v_add_f64 v[158:159], v[158:159], v[193:194]
	v_mul_f64 v[193:194], v[234:235], s[14:15]
	v_add_f64 v[154:155], v[154:155], v[195:196]
	v_add_f64 v[195:196], v[136:137], v[140:141]
	v_fma_f64 v[146:147], v[232:233], s[2:3], v[144:145]
	v_fma_f64 v[144:145], v[232:233], s[2:3], -v[144:145]
	v_add_f64 v[182:183], v[168:169], v[197:198]
	v_fma_f64 v[168:169], v[164:165], s[44:45], v[170:171]
	v_add_f64 v[160:161], v[160:161], v[199:200]
	v_add_f64 v[199:200], v[138:139], -v[142:143]
	v_add_f64 v[197:198], v[138:139], v[142:143]
	v_add_f64 v[148:149], v[146:147], v[174:175]
	v_mul_f64 v[146:147], v[234:235], s[2:3]
	v_add_f64 v[144:145], v[144:145], v[162:163]
	v_add_f64 v[180:181], v[168:169], v[212:213]
	v_mul_f64 v[168:169], v[166:167], s[38:39]
	v_fma_f64 v[162:163], v[164:165], s[30:31], v[170:171]
	v_mul_f64 v[166:167], v[166:167], s[12:13]
	v_fma_f64 v[150:151], v[164:165], s[6:7], v[146:147]
	v_fma_f64 v[146:147], v[164:165], s[20:21], v[146:147]
	;; [unrolled: 1-line block ×3, first 2 shown]
	v_fma_f64 v[168:169], v[232:233], s[22:23], -v[168:169]
	v_add_f64 v[162:163], v[162:163], v[214:215]
	v_add_f64 v[150:151], v[150:151], v[178:179]
	;; [unrolled: 1-line block ×4, first 2 shown]
	v_mul_f64 v[170:171], v[234:235], s[22:23]
	v_add_f64 v[174:175], v[168:169], v[216:217]
	v_fma_f64 v[172:173], v[164:165], s[24:25], v[170:171]
	v_fma_f64 v[168:169], v[164:165], s[38:39], v[170:171]
	v_add_f64 v[178:179], v[172:173], v[222:223]
	v_add_f64 v[172:173], v[168:169], v[220:221]
	v_fma_f64 v[168:169], v[232:233], s[14:15], v[166:167]
	v_fma_f64 v[166:167], v[232:233], s[14:15], -v[166:167]
	v_add_f64 v[170:171], v[168:169], v[224:225]
	v_fma_f64 v[168:169], v[164:165], s[40:41], v[193:194]
	v_fma_f64 v[164:165], v[164:165], s[12:13], v[193:194]
	v_add_f64 v[193:194], v[136:137], -v[140:141]
	v_mul_f64 v[136:137], v[199:200], s[30:31]
	v_add_f64 v[166:167], v[166:167], v[228:229]
	v_add_f64 v[168:169], v[168:169], v[226:227]
	;; [unrolled: 1-line block ×3, first 2 shown]
	v_fma_f64 v[138:139], v[195:196], s[34:35], v[136:137]
	v_fma_f64 v[136:137], v[195:196], s[34:35], -v[136:137]
	v_add_f64 v[140:141], v[138:139], v[185:186]
	v_mul_f64 v[138:139], v[197:198], s[34:35]
	v_mul_f64 v[185:186], v[199:200], s[38:39]
	v_add_f64 v[136:137], v[136:137], v[189:190]
	v_fma_f64 v[142:143], v[193:194], s[44:45], v[138:139]
	v_fma_f64 v[138:139], v[193:194], s[30:31], v[138:139]
	v_add_f64 v[142:143], v[142:143], v[187:188]
	v_fma_f64 v[187:188], v[195:196], s[22:23], v[185:186]
	v_fma_f64 v[185:186], v[195:196], s[22:23], -v[185:186]
	v_add_f64 v[138:139], v[138:139], v[191:192]
	v_add_f64 v[148:149], v[187:188], v[148:149]
	v_mul_f64 v[187:188], v[197:198], s[22:23]
	v_add_f64 v[144:145], v[185:186], v[144:145]
	v_fma_f64 v[185:186], v[193:194], s[38:39], v[187:188]
	v_fma_f64 v[189:190], v[193:194], s[24:25], v[187:188]
	v_add_f64 v[146:147], v[185:186], v[146:147]
	v_mul_f64 v[185:186], v[199:200], s[26:27]
	v_add_f64 v[150:151], v[189:190], v[150:151]
	v_fma_f64 v[187:188], v[195:196], s[28:29], v[185:186]
	v_fma_f64 v[185:186], v[195:196], s[28:29], -v[185:186]
	v_add_f64 v[152:153], v[187:188], v[152:153]
	v_mul_f64 v[187:188], v[197:198], s[28:29]
	v_add_f64 v[156:157], v[185:186], v[156:157]
	v_fma_f64 v[185:186], v[193:194], s[26:27], v[187:188]
	v_fma_f64 v[189:190], v[193:194], s[36:37], v[187:188]
	v_add_f64 v[158:159], v[185:186], v[158:159]
	v_mul_f64 v[185:186], v[199:200], s[42:43]
	v_add_f64 v[154:155], v[189:190], v[154:155]
	v_fma_f64 v[187:188], v[195:196], s[16:17], v[185:186]
	v_fma_f64 v[185:186], v[195:196], s[16:17], -v[185:186]
	;; [unrolled: 10-line block ×3, first 2 shown]
	v_add_f64 v[176:177], v[182:183], v[176:177]
	v_mul_f64 v[182:183], v[197:198], s[14:15]
	v_add_f64 v[180:181], v[180:181], v[174:175]
	v_fma_f64 v[174:175], v[193:194], s[12:13], v[182:183]
	v_fma_f64 v[189:190], v[193:194], s[40:41], v[182:183]
	v_add_f64 v[182:183], v[174:175], v[172:173]
	v_mul_f64 v[174:175], v[199:200], s[20:21]
	v_add_f64 v[178:179], v[189:190], v[178:179]
	v_mul_f64 v[189:190], v[197:198], s[2:3]
	v_fma_f64 v[172:173], v[195:196], s[2:3], v[174:175]
	v_add_f64 v[170:171], v[172:173], v[170:171]
	v_fma_f64 v[172:173], v[193:194], s[6:7], v[189:190]
	v_add_f64 v[172:173], v[172:173], v[168:169]
	v_fma_f64 v[168:169], v[195:196], s[2:3], -v[174:175]
	v_add_f64 v[166:167], v[168:169], v[166:167]
	v_fma_f64 v[168:169], v[193:194], s[20:21], v[189:190]
	v_add_f64 v[168:169], v[168:169], v[164:165]
	ds_write_b128 v204, v[132:135]
	ds_write_b128 v204, v[140:143] offset:16
	ds_write_b128 v204, v[148:151] offset:32
	;; [unrolled: 1-line block ×12, first 2 shown]
	s_waitcnt lgkmcnt(0)
	s_barrier
	buffer_gl0_inv
	ds_read_b128 v[132:135], v202
	ds_read_b128 v[160:163], v202 offset:2704
	ds_read_b128 v[140:143], v202 offset:416
	;; [unrolled: 1-line block ×11, first 2 shown]
	s_and_saveexec_b32 s0, vcc_lo
	s_cbranch_execz .LBB0_7
; %bb.6:
	ds_read_b128 v[136:139], v202 offset:2496
	ds_read_b128 v[124:127], v202 offset:5200
.LBB0_7:
	s_or_b32 exec_lo, exec_lo, s0
	s_waitcnt lgkmcnt(10)
	v_mul_f64 v[185:186], v[90:91], v[162:163]
	v_mul_f64 v[90:91], v[90:91], v[160:161]
	s_waitcnt lgkmcnt(8)
	v_mul_f64 v[187:188], v[86:87], v[166:167]
	v_mul_f64 v[86:87], v[86:87], v[164:165]
	;; [unrolled: 3-line block ×6, first 2 shown]
	s_barrier
	buffer_gl0_inv
	v_fma_f64 v[160:161], v[88:89], v[160:161], v[185:186]
	v_fma_f64 v[88:89], v[88:89], v[162:163], -v[90:91]
	v_fma_f64 v[90:91], v[84:85], v[164:165], v[187:188]
	v_fma_f64 v[162:163], v[84:85], v[166:167], -v[86:87]
	;; [unrolled: 2-line block ×6, first 2 shown]
	v_add_f64 v[84:85], v[132:133], -v[160:161]
	v_add_f64 v[86:87], v[134:135], -v[88:89]
	;; [unrolled: 1-line block ×12, first 2 shown]
	v_fma_f64 v[132:133], v[132:133], 2.0, -v[84:85]
	v_fma_f64 v[134:135], v[134:135], 2.0, -v[86:87]
	;; [unrolled: 1-line block ×12, first 2 shown]
	ds_write_b128 v206, v[84:87] offset:208
	ds_write_b128 v206, v[132:135]
	ds_write_b128 v211, v[140:143]
	ds_write_b128 v211, v[88:91] offset:208
	ds_write_b128 v210, v[144:147]
	ds_write_b128 v210, v[96:99] offset:208
	;; [unrolled: 2-line block ×5, first 2 shown]
	s_and_saveexec_b32 s0, vcc_lo
	s_cbranch_execz .LBB0_9
; %bb.8:
	v_mul_f64 v[84:85], v[54:55], v[124:125]
	v_mul_f64 v[54:55], v[54:55], v[126:127]
	v_lshl_add_u32 v88, v205, 4, v203
	v_fma_f64 v[84:85], v[52:53], v[126:127], -v[84:85]
	v_fma_f64 v[52:53], v[52:53], v[124:125], v[54:55]
	v_add_f64 v[54:55], v[138:139], -v[84:85]
	v_add_f64 v[52:53], v[136:137], -v[52:53]
	v_fma_f64 v[86:87], v[138:139], 2.0, -v[54:55]
	v_fma_f64 v[84:85], v[136:137], 2.0, -v[52:53]
	ds_write_b128 v88, v[84:87] offset:4992
	ds_write_b128 v88, v[52:55] offset:5200
.LBB0_9:
	s_or_b32 exec_lo, exec_lo, s0
	s_waitcnt lgkmcnt(0)
	s_barrier
	buffer_gl0_inv
	ds_read_b128 v[84:87], v202 offset:416
	ds_read_b128 v[52:55], v202
	ds_read_b128 v[88:91], v202 offset:832
	ds_read_b128 v[96:99], v202 offset:1248
	;; [unrolled: 1-line block ×11, first 2 shown]
	s_mov_b32 s2, 0x4267c47c
	s_mov_b32 s3, 0xbfddbe06
	;; [unrolled: 1-line block ×9, first 2 shown]
	s_waitcnt lgkmcnt(10)
	v_mul_f64 v[154:155], v[66:67], v[90:91]
	v_mul_f64 v[66:67], v[66:67], v[88:89]
	s_mov_b32 s24, 0x2ef20147
	s_waitcnt lgkmcnt(7)
	v_mul_f64 v[156:157], v[82:83], v[106:107]
	v_mul_f64 v[82:83], v[82:83], v[104:105]
	s_waitcnt lgkmcnt(6)
	v_mul_f64 v[160:161], v[78:79], v[110:111]
	s_waitcnt lgkmcnt(4)
	v_mul_f64 v[162:163], v[70:71], v[134:135]
	v_mul_f64 v[70:71], v[70:71], v[132:133]
	;; [unrolled: 1-line block ×5, first 2 shown]
	s_waitcnt lgkmcnt(3)
	v_mul_f64 v[158:159], v[130:131], v[138:139]
	v_mul_f64 v[130:131], v[130:131], v[136:137]
	s_mov_b32 s26, 0xb2365da1
	s_mov_b32 s30, 0x24c2f84
	;; [unrolled: 1-line block ×9, first 2 shown]
	v_fma_f64 v[88:89], v[64:65], v[88:89], v[154:155]
	v_fma_f64 v[64:65], v[64:65], v[90:91], -v[66:67]
	v_mul_f64 v[154:155], v[58:59], v[102:103]
	v_mul_f64 v[58:59], v[58:59], v[100:101]
	v_fma_f64 v[104:105], v[80:81], v[104:105], v[156:157]
	v_fma_f64 v[80:81], v[80:81], v[106:107], -v[82:83]
	s_mov_b32 s37, 0xbfe7f3cc
	s_mov_b32 s35, 0xbfcea1e5
	v_fma_f64 v[84:85], v[92:93], v[84:85], v[152:153]
	v_fma_f64 v[86:87], v[92:93], v[86:87], -v[94:95]
	v_mul_f64 v[152:153], v[62:63], v[98:99]
	v_mul_f64 v[62:63], v[62:63], v[96:97]
	s_waitcnt lgkmcnt(0)
	v_mul_f64 v[94:95], v[122:123], v[148:149]
	v_mul_f64 v[122:123], v[122:123], v[150:151]
	v_fma_f64 v[106:107], v[128:129], v[138:139], -v[130:131]
	s_mov_b32 s41, 0xbfef11f4
	v_fma_f64 v[82:83], v[128:129], v[136:137], v[158:159]
	s_mov_b32 s1, 0x3fddbe06
	s_mov_b32 s13, 0x3fea55e2
	;; [unrolled: 1-line block ×7, first 2 shown]
	v_fma_f64 v[100:101], v[56:57], v[100:101], v[154:155]
	v_fma_f64 v[102:103], v[56:57], v[102:103], -v[58:59]
	v_fma_f64 v[56:57], v[76:77], v[108:109], v[160:161]
	s_mov_b32 s43, 0x3fcea1e5
	s_mov_b32 s22, s18
	;; [unrolled: 1-line block ×3, first 2 shown]
	v_add_f64 v[92:93], v[52:53], v[84:85]
	v_add_f64 v[66:67], v[54:55], v[86:87]
	v_fma_f64 v[90:91], v[60:61], v[96:97], v[152:153]
	v_fma_f64 v[98:99], v[60:61], v[98:99], -v[62:63]
	v_fma_f64 v[94:95], v[120:121], v[150:151], -v[94:95]
	v_mul_f64 v[150:151], v[74:75], v[126:127]
	v_mul_f64 v[74:75], v[74:75], v[124:125]
	v_fma_f64 v[120:121], v[120:121], v[148:149], v[122:123]
	v_fma_f64 v[60:61], v[76:77], v[110:111], -v[78:79]
	v_mul_f64 v[96:97], v[118:119], v[146:147]
	v_mul_f64 v[118:119], v[118:119], v[144:145]
	;; [unrolled: 1-line block ×4, first 2 shown]
	s_mov_b32 s38, s30
	s_mov_b32 s42, s34
	v_add_f64 v[122:123], v[102:103], v[106:107]
	v_add_f64 v[92:93], v[92:93], v[88:89]
	;; [unrolled: 1-line block ×3, first 2 shown]
	v_add_f64 v[76:77], v[86:87], -v[94:95]
	v_fma_f64 v[58:59], v[72:73], v[124:125], v[150:151]
	v_fma_f64 v[62:63], v[72:73], v[126:127], -v[74:75]
	v_fma_f64 v[72:73], v[68:69], v[132:133], v[162:163]
	v_fma_f64 v[68:69], v[68:69], v[134:135], -v[70:71]
	v_add_f64 v[70:71], v[84:85], v[120:121]
	v_add_f64 v[74:75], v[84:85], -v[120:121]
	v_fma_f64 v[96:97], v[116:117], v[144:145], v[96:97]
	v_fma_f64 v[116:117], v[116:117], v[146:147], -v[118:119]
	v_add_f64 v[78:79], v[86:87], v[94:95]
	v_fma_f64 v[118:119], v[112:113], v[140:141], v[152:153]
	v_fma_f64 v[112:113], v[112:113], v[142:143], -v[114:115]
	v_add_f64 v[124:125], v[102:103], -v[106:107]
	v_add_f64 v[114:115], v[100:101], v[82:83]
	v_mul_f64 v[187:188], v[122:123], s[26:27]
	v_add_f64 v[92:93], v[92:93], v[90:91]
	v_add_f64 v[66:67], v[66:67], v[98:99]
	v_mul_f64 v[126:127], v[76:77], s[2:3]
	v_mul_f64 v[130:131], v[76:77], s[14:15]
	;; [unrolled: 1-line block ×6, first 2 shown]
	v_add_f64 v[86:87], v[88:89], v[96:97]
	v_add_f64 v[88:89], v[88:89], -v[96:97]
	v_mul_f64 v[128:129], v[78:79], s[6:7]
	v_mul_f64 v[132:133], v[78:79], s[16:17]
	;; [unrolled: 1-line block ×4, first 2 shown]
	v_add_f64 v[110:111], v[98:99], v[112:113]
	v_add_f64 v[98:99], v[98:99], -v[112:113]
	v_add_f64 v[108:109], v[90:91], v[118:119]
	v_add_f64 v[90:91], v[90:91], -v[118:119]
	v_mul_f64 v[185:186], v[124:125], s[24:25]
	v_add_f64 v[84:85], v[92:93], v[100:101]
	v_add_f64 v[66:67], v[66:67], v[102:103]
	;; [unrolled: 1-line block ×3, first 2 shown]
	v_add_f64 v[64:65], v[64:65], -v[116:117]
	v_mul_f64 v[102:103], v[78:79], s[26:27]
	v_mul_f64 v[78:79], v[78:79], s[40:41]
	v_add_f64 v[100:101], v[100:101], -v[82:83]
	v_fma_f64 v[191:192], v[70:71], s[6:7], v[126:127]
	v_fma_f64 v[126:127], v[70:71], s[6:7], -v[126:127]
	v_fma_f64 v[195:196], v[70:71], s[16:17], v[130:131]
	v_fma_f64 v[199:200], v[70:71], s[20:21], v[134:135]
	v_fma_f64 v[130:131], v[70:71], s[16:17], -v[130:131]
	v_fma_f64 v[134:135], v[70:71], s[20:21], -v[134:135]
	v_fma_f64 v[193:194], v[74:75], s[0:1], v[128:129]
	v_fma_f64 v[128:129], v[74:75], s[2:3], v[128:129]
	;; [unrolled: 1-line block ×7, first 2 shown]
	v_fma_f64 v[138:139], v[70:71], s[26:27], -v[138:139]
	v_fma_f64 v[209:210], v[70:71], s[36:37], v[140:141]
	v_add_f64 v[84:85], v[84:85], v[104:105]
	v_add_f64 v[66:67], v[66:67], v[80:81]
	v_mul_f64 v[146:147], v[92:93], s[16:17]
	v_mul_f64 v[144:145], v[64:65], s[14:15]
	v_mul_f64 v[148:149], v[64:65], s[24:25]
	v_mul_f64 v[150:151], v[92:93], s[26:27]
	v_mul_f64 v[152:153], v[64:65], s[34:35]
	v_mul_f64 v[154:155], v[92:93], s[40:41]
	v_mul_f64 v[156:157], v[64:65], s[38:39]
	v_mul_f64 v[158:159], v[92:93], s[36:37]
	v_mul_f64 v[160:161], v[64:65], s[22:23]
	v_mul_f64 v[162:163], v[92:93], s[20:21]
	v_mul_f64 v[64:65], v[64:65], s[0:1]
	v_mul_f64 v[92:93], v[92:93], s[6:7]
	v_fma_f64 v[207:208], v[74:75], s[28:29], v[102:103]
	v_fma_f64 v[102:103], v[74:75], s[24:25], v[102:103]
	v_fma_f64 v[211:212], v[74:75], s[38:39], v[142:143]
	v_fma_f64 v[140:141], v[70:71], s[36:37], -v[140:141]
	v_fma_f64 v[142:143], v[74:75], s[30:31], v[142:143]
	v_fma_f64 v[213:214], v[70:71], s[40:41], v[76:77]
	;; [unrolled: 1-line block ×3, first 2 shown]
	v_fma_f64 v[70:71], v[70:71], s[40:41], -v[76:77]
	v_add_f64 v[84:85], v[84:85], v[56:57]
	v_add_f64 v[66:67], v[66:67], v[60:61]
	v_fma_f64 v[74:75], v[74:75], s[34:35], v[78:79]
	v_mul_f64 v[164:165], v[98:99], s[18:19]
	v_fma_f64 v[76:77], v[86:87], s[16:17], v[144:145]
	v_add_f64 v[191:192], v[52:53], v[191:192]
	v_mul_f64 v[166:167], v[110:111], s[20:21]
	v_mul_f64 v[168:169], v[98:99], s[34:35]
	;; [unrolled: 1-line block ×4, first 2 shown]
	v_fma_f64 v[78:79], v[88:89], s[12:13], v[146:147]
	v_fma_f64 v[144:145], v[86:87], s[16:17], -v[144:145]
	v_fma_f64 v[146:147], v[88:89], s[14:15], v[146:147]
	v_fma_f64 v[217:218], v[86:87], s[26:27], v[148:149]
	;; [unrolled: 1-line block ×5, first 2 shown]
	v_add_f64 v[193:194], v[54:55], v[193:194]
	v_add_f64 v[126:127], v[52:53], v[126:127]
	;; [unrolled: 1-line block ×9, first 2 shown]
	v_mul_f64 v[174:175], v[110:111], s[26:27]
	v_mul_f64 v[176:177], v[98:99], s[0:1]
	;; [unrolled: 1-line block ×4, first 2 shown]
	v_fma_f64 v[148:149], v[86:87], s[26:27], -v[148:149]
	v_fma_f64 v[223:224], v[88:89], s[42:43], v[154:155]
	v_fma_f64 v[152:153], v[86:87], s[40:41], -v[152:153]
	v_fma_f64 v[154:155], v[88:89], s[34:35], v[154:155]
	v_fma_f64 v[225:226], v[86:87], s[36:37], v[156:157]
	v_fma_f64 v[156:157], v[86:87], s[36:37], -v[156:157]
	v_fma_f64 v[229:230], v[86:87], s[20:21], v[160:161]
	v_fma_f64 v[160:161], v[86:87], s[20:21], -v[160:161]
	;; [unrolled: 2-line block ×3, first 2 shown]
	v_fma_f64 v[86:87], v[88:89], s[0:1], v[92:93]
	v_add_f64 v[130:131], v[52:53], v[130:131]
	v_add_f64 v[203:204], v[54:55], v[203:204]
	;; [unrolled: 1-line block ×12, first 2 shown]
	v_mul_f64 v[182:183], v[110:111], s[16:17]
	v_fma_f64 v[231:232], v[88:89], s[18:19], v[162:163]
	v_mul_f64 v[178:179], v[110:111], s[6:7]
	v_mul_f64 v[110:111], v[110:111], s[36:37]
	v_fma_f64 v[227:228], v[88:89], s[30:31], v[158:159]
	v_fma_f64 v[158:159], v[88:89], s[38:39], v[158:159]
	;; [unrolled: 1-line block ×5, first 2 shown]
	v_fma_f64 v[92:93], v[108:109], s[20:21], -v[164:165]
	v_fma_f64 v[164:165], v[90:91], s[18:19], v[166:167]
	v_fma_f64 v[237:238], v[90:91], s[42:43], v[170:171]
	;; [unrolled: 1-line block ×3, first 2 shown]
	v_add_f64 v[82:83], v[84:85], v[82:83]
	v_add_f64 v[66:67], v[66:67], v[106:107]
	v_fma_f64 v[84:85], v[90:91], s[22:23], v[166:167]
	v_fma_f64 v[166:167], v[108:109], s[40:41], v[168:169]
	;; [unrolled: 1-line block ×3, first 2 shown]
	v_add_f64 v[132:133], v[150:151], v[132:133]
	v_fma_f64 v[168:169], v[108:109], s[40:41], -v[168:169]
	v_fma_f64 v[241:242], v[90:91], s[24:25], v[174:175]
	v_fma_f64 v[174:175], v[90:91], s[28:29], v[174:175]
	v_add_f64 v[130:131], v[148:149], v[130:131]
	v_add_f64 v[136:137], v[154:155], v[136:137]
	v_fma_f64 v[172:173], v[108:109], s[26:27], -v[172:173]
	v_fma_f64 v[249:250], v[90:91], s[12:13], v[182:183]
	v_add_f64 v[134:135], v[152:153], v[134:135]
	v_mul_f64 v[189:190], v[124:125], s[38:39]
	v_fma_f64 v[243:244], v[108:109], s[6:7], v[176:177]
	v_fma_f64 v[106:107], v[108:109], s[36:37], v[98:99]
	v_add_f64 v[148:149], v[225:226], v[205:206]
	v_fma_f64 v[245:246], v[90:91], s[2:3], v[178:179]
	v_fma_f64 v[176:177], v[108:109], s[6:7], -v[176:177]
	v_fma_f64 v[178:179], v[90:91], s[0:1], v[178:179]
	v_fma_f64 v[247:248], v[108:109], s[16:17], v[180:181]
	v_add_f64 v[82:83], v[82:83], v[118:119]
	v_add_f64 v[66:67], v[66:67], v[112:113]
	;; [unrolled: 1-line block ×16, first 2 shown]
	v_fma_f64 v[180:181], v[108:109], s[16:17], -v[180:181]
	v_fma_f64 v[182:183], v[90:91], s[14:15], v[182:183]
	v_fma_f64 v[118:119], v[90:91], s[38:39], v[110:111]
	;; [unrolled: 1-line block ×3, first 2 shown]
	v_add_f64 v[150:151], v[227:228], v[207:208]
	v_add_f64 v[154:155], v[104:105], v[72:73]
	;; [unrolled: 1-line block ×18, first 2 shown]
	v_fma_f64 v[132:133], v[100:101], s[28:29], v[187:188]
	v_mul_f64 v[144:145], v[124:125], s[0:1]
	v_add_f64 v[130:131], v[241:242], v[146:147]
	v_mul_f64 v[146:147], v[122:123], s[6:7]
	v_add_f64 v[78:79], v[164:165], v[78:79]
	v_add_f64 v[112:113], v[160:161], v[112:113]
	;; [unrolled: 1-line block ×4, first 2 shown]
	v_fma_f64 v[94:95], v[108:109], s[36:37], -v[98:99]
	v_mul_f64 v[108:109], v[122:123], s[36:37]
	v_fma_f64 v[120:121], v[114:115], s[26:27], v[185:186]
	v_add_f64 v[82:83], v[174:175], v[136:137]
	v_fma_f64 v[136:137], v[114:115], s[26:27], -v[185:186]
	v_add_f64 v[66:67], v[172:173], v[134:135]
	v_add_f64 v[134:135], v[249:250], v[138:139]
	v_fma_f64 v[138:139], v[100:101], s[24:25], v[187:188]
	v_add_f64 v[98:99], v[243:244], v[148:149]
	v_add_f64 v[106:107], v[106:107], v[142:143]
	v_fma_f64 v[142:143], v[114:115], s[36:37], v[189:190]
	v_mul_f64 v[148:149], v[124:125], s[18:19]
	v_add_f64 v[140:141], v[162:163], v[140:141]
	v_add_f64 v[118:119], v[118:119], v[152:153]
	;; [unrolled: 1-line block ×3, first 2 shown]
	v_fma_f64 v[90:91], v[114:115], s[36:37], -v[189:190]
	v_add_f64 v[110:111], v[245:246], v[150:151]
	v_mul_f64 v[150:151], v[122:123], s[20:21]
	v_add_f64 v[74:75], v[132:133], v[74:75]
	v_fma_f64 v[132:133], v[114:115], s[6:7], v[144:145]
	v_add_f64 v[72:73], v[104:105], -v[72:73]
	v_add_f64 v[112:113], v[180:181], v[112:113]
	v_add_f64 v[64:65], v[94:95], v[64:65]
	v_add_f64 v[94:95], v[80:81], -v[68:69]
	v_add_f64 v[68:69], v[80:81], v[68:69]
	v_fma_f64 v[152:153], v[100:101], s[30:31], v[108:109]
	v_add_f64 v[70:71], v[120:121], v[70:71]
	v_mul_f64 v[80:81], v[124:125], s[42:43]
	v_fma_f64 v[108:109], v[100:101], s[38:39], v[108:109]
	v_mul_f64 v[120:121], v[122:123], s[40:41]
	v_mul_f64 v[122:123], v[122:123], s[16:17]
	v_add_f64 v[76:77], v[136:137], v[76:77]
	v_fma_f64 v[136:137], v[100:101], s[2:3], v[146:147]
	v_mul_f64 v[124:125], v[124:125], s[12:13]
	v_add_f64 v[78:79], v[138:139], v[78:79]
	v_fma_f64 v[138:139], v[114:115], s[6:7], -v[144:145]
	v_add_f64 v[84:85], v[142:143], v[84:85]
	v_fma_f64 v[142:143], v[114:115], s[20:21], v[148:149]
	v_add_f64 v[140:141], v[182:183], v[140:141]
	v_fma_f64 v[144:145], v[100:101], s[0:1], v[146:147]
	v_add_f64 v[90:91], v[90:91], v[92:93]
	v_add_f64 v[102:103], v[158:159], v[102:103]
	;; [unrolled: 1-line block ×3, first 2 shown]
	v_fma_f64 v[146:147], v[100:101], s[22:23], v[150:151]
	v_fma_f64 v[150:151], v[100:101], s[18:19], v[150:151]
	v_mul_f64 v[156:157], v[94:95], s[30:31]
	v_mul_f64 v[104:105], v[68:69], s[36:37]
	v_add_f64 v[88:89], v[152:153], v[88:89]
	v_fma_f64 v[148:149], v[114:115], s[20:21], -v[148:149]
	v_fma_f64 v[152:153], v[114:115], s[40:41], v[80:81]
	v_add_f64 v[92:93], v[108:109], v[126:127]
	v_fma_f64 v[108:109], v[100:101], s[34:35], v[120:121]
	v_fma_f64 v[80:81], v[114:115], s[40:41], -v[80:81]
	v_fma_f64 v[120:121], v[100:101], s[42:43], v[120:121]
	v_add_f64 v[126:127], v[132:133], v[128:129]
	v_fma_f64 v[132:133], v[100:101], s[14:15], v[122:123]
	v_fma_f64 v[100:101], v[100:101], s[12:13], v[122:123]
	v_add_f64 v[128:129], v[136:137], v[130:131]
	v_fma_f64 v[130:131], v[114:115], s[16:17], v[124:125]
	v_fma_f64 v[114:115], v[114:115], s[16:17], -v[124:125]
	v_mul_f64 v[124:125], v[94:95], s[22:23]
	v_mul_f64 v[136:137], v[68:69], s[20:21]
	v_add_f64 v[66:67], v[138:139], v[66:67]
	v_add_f64 v[98:99], v[142:143], v[98:99]
	v_mul_f64 v[142:143], v[94:95], s[14:15]
	v_add_f64 v[82:83], v[144:145], v[82:83]
	v_mul_f64 v[144:145], v[68:69], s[16:17]
	v_fma_f64 v[122:123], v[154:155], s[36:37], v[156:157]
	v_fma_f64 v[138:139], v[72:73], s[38:39], v[104:105]
	;; [unrolled: 1-line block ×3, first 2 shown]
	v_add_f64 v[96:97], v[176:177], v[96:97]
	v_add_f64 v[102:103], v[178:179], v[102:103]
	;; [unrolled: 1-line block ×6, first 2 shown]
	v_fma_f64 v[120:121], v[154:155], s[36:37], -v[156:157]
	v_mul_f64 v[134:135], v[94:95], s[42:43]
	v_mul_f64 v[140:141], v[68:69], s[40:41]
	v_add_f64 v[86:87], v[100:101], v[86:87]
	v_add_f64 v[100:101], v[60:61], -v[62:63]
	v_add_f64 v[60:61], v[60:61], v[62:63]
	v_add_f64 v[106:107], v[130:131], v[106:107]
	;; [unrolled: 1-line block ×3, first 2 shown]
	v_fma_f64 v[114:115], v[72:73], s[18:19], v[136:137]
	v_mul_f64 v[130:131], v[94:95], s[0:1]
	v_add_f64 v[118:119], v[132:133], v[118:119]
	v_fma_f64 v[132:133], v[154:155], s[16:17], v[142:143]
	v_fma_f64 v[142:143], v[154:155], s[16:17], -v[142:143]
	v_add_f64 v[62:63], v[122:123], v[70:71]
	v_fma_f64 v[70:71], v[154:155], s[20:21], v[124:125]
	v_fma_f64 v[122:123], v[154:155], s[20:21], -v[124:125]
	v_add_f64 v[74:75], v[138:139], v[74:75]
	v_fma_f64 v[124:125], v[72:73], s[22:23], v[136:137]
	v_mul_f64 v[138:139], v[68:69], s[6:7]
	v_fma_f64 v[136:137], v[72:73], s[12:13], v[144:145]
	v_fma_f64 v[144:145], v[72:73], s[14:15], v[144:145]
	v_add_f64 v[104:105], v[104:105], v[78:79]
	v_add_f64 v[76:77], v[120:121], v[76:77]
	v_fma_f64 v[120:121], v[154:155], s[40:41], v[134:135]
	v_mul_f64 v[78:79], v[94:95], s[24:25]
	v_mul_f64 v[68:69], v[68:69], s[26:27]
	v_add_f64 v[110:111], v[146:147], v[110:111]
	v_add_f64 v[96:97], v[148:149], v[96:97]
	;; [unrolled: 1-line block ×4, first 2 shown]
	v_fma_f64 v[146:147], v[72:73], s[34:35], v[140:141]
	v_add_f64 v[94:95], v[56:57], v[58:59]
	v_add_f64 v[148:149], v[56:57], -v[58:59]
	v_mul_f64 v[150:151], v[100:101], s[34:35]
	v_mul_f64 v[152:153], v[60:61], s[40:41]
	v_fma_f64 v[58:59], v[72:73], s[42:43], v[140:141]
	v_add_f64 v[70:71], v[70:71], v[84:85]
	v_add_f64 v[84:85], v[114:115], v[88:89]
	;; [unrolled: 1-line block ×3, first 2 shown]
	v_fma_f64 v[90:91], v[154:155], s[6:7], v[130:131]
	v_add_f64 v[114:115], v[124:125], v[92:93]
	v_fma_f64 v[124:125], v[72:73], s[2:3], v[138:139]
	v_add_f64 v[92:93], v[132:133], v[126:127]
	v_add_f64 v[126:127], v[142:143], v[66:67]
	v_fma_f64 v[66:67], v[154:155], s[6:7], -v[130:131]
	v_fma_f64 v[56:57], v[154:155], s[40:41], -v[134:135]
	v_add_f64 v[122:123], v[136:137], v[128:129]
	v_add_f64 v[128:129], v[144:145], v[82:83]
	;; [unrolled: 1-line block ×3, first 2 shown]
	v_fma_f64 v[120:121], v[154:155], s[26:27], v[78:79]
	v_fma_f64 v[130:131], v[72:73], s[28:29], v[68:69]
	v_fma_f64 v[78:79], v[154:155], s[26:27], -v[78:79]
	v_fma_f64 v[68:69], v[72:73], s[24:25], v[68:69]
	v_mul_f64 v[134:135], v[100:101], s[0:1]
	v_mul_f64 v[136:137], v[60:61], s[6:7]
	v_add_f64 v[98:99], v[146:147], v[110:111]
	v_fma_f64 v[110:111], v[72:73], s[0:1], v[138:139]
	v_fma_f64 v[72:73], v[94:95], s[40:41], v[150:151]
	;; [unrolled: 1-line block ×3, first 2 shown]
	v_add_f64 v[138:139], v[58:59], v[102:103]
	v_mul_f64 v[102:103], v[100:101], s[30:31]
	v_mul_f64 v[140:141], v[60:61], s[36:37]
	v_add_f64 v[90:91], v[90:91], v[116:117]
	v_mul_f64 v[116:117], v[100:101], s[12:13]
	v_mul_f64 v[142:143], v[60:61], s[16:17]
	;; [unrolled: 3-line block ×4, first 2 shown]
	v_add_f64 v[96:97], v[56:57], v[96:97]
	v_add_f64 v[100:101], v[120:121], v[106:107]
	;; [unrolled: 1-line block ×4, first 2 shown]
	v_fma_f64 v[64:65], v[94:95], s[6:7], v[134:135]
	v_fma_f64 v[68:69], v[148:149], s[2:3], v[136:137]
	v_add_f64 v[106:107], v[130:131], v[118:119]
	v_add_f64 v[110:111], v[110:111], v[112:113]
	;; [unrolled: 1-line block ×4, first 2 shown]
	v_fma_f64 v[72:73], v[94:95], s[6:7], -v[134:135]
	v_fma_f64 v[74:75], v[94:95], s[36:37], v[102:103]
	v_fma_f64 v[80:81], v[148:149], s[38:39], v[140:141]
	v_fma_f64 v[62:63], v[94:95], s[40:41], -v[150:151]
	v_fma_f64 v[112:113], v[94:95], s[16:17], v[116:117]
	v_fma_f64 v[118:119], v[148:149], s[14:15], v[142:143]
	v_fma_f64 v[116:117], v[94:95], s[16:17], -v[116:117]
	v_fma_f64 v[120:121], v[94:95], s[26:27], v[124:125]
	v_fma_f64 v[130:131], v[148:149], s[28:29], v[144:145]
	v_fma_f64 v[102:103], v[94:95], s[36:37], -v[102:103]
	v_fma_f64 v[132:133], v[94:95], s[20:21], v[66:67]
	v_fma_f64 v[134:135], v[148:149], s[18:19], v[60:61]
	v_fma_f64 v[124:125], v[94:95], s[26:27], -v[124:125]
	v_fma_f64 v[94:95], v[94:95], s[20:21], -v[66:67]
	v_fma_f64 v[150:151], v[148:149], s[22:23], v[60:61]
	v_fma_f64 v[144:145], v[148:149], s[24:25], v[144:145]
	v_fma_f64 v[142:143], v[148:149], s[12:13], v[142:143]
	v_fma_f64 v[140:141], v[148:149], s[30:31], v[140:141]
	v_fma_f64 v[136:137], v[148:149], s[0:1], v[136:137]
	v_fma_f64 v[148:149], v[148:149], s[34:35], v[152:153]
	v_add_f64 v[64:65], v[64:65], v[70:71]
	v_add_f64 v[66:67], v[68:69], v[84:85]
	;; [unrolled: 1-line block ×22, first 2 shown]
	ds_write_b128 v202, v[52:55]
	ds_write_b128 v202, v[56:59] offset:416
	ds_write_b128 v202, v[64:67] offset:832
	;; [unrolled: 1-line block ×12, first 2 shown]
	s_waitcnt lgkmcnt(0)
	s_barrier
	buffer_gl0_inv
	ds_read_b128 v[52:55], v202
	ds_read_b128 v[56:59], v202 offset:416
	ds_read_b128 v[60:63], v202 offset:832
	v_mad_u64_u32 v[68:69], null, s10, v184, 0
	v_mad_u64_u32 v[72:73], null, s8, v201, 0
	s_mov_b32 s0, 0x7ab2bedd
	s_mov_b32 s1, 0x3f683c97
	s_mul_i32 s2, s9, 0x1a0
	s_mul_hi_u32 s3, s8, 0x1a0
	s_add_i32 s2, s3, s2
	s_mul_i32 s3, s8, 0x1a0
	s_waitcnt lgkmcnt(2)
	v_mul_f64 v[64:65], v[18:19], v[54:55]
	v_mul_f64 v[18:19], v[18:19], v[52:53]
	s_waitcnt lgkmcnt(1)
	v_mul_f64 v[70:71], v[26:27], v[58:59]
	v_mul_f64 v[26:27], v[26:27], v[56:57]
	v_fma_f64 v[52:53], v[16:17], v[52:53], v[64:65]
	ds_read_b128 v[64:67], v202 offset:1248
	s_waitcnt lgkmcnt(1)
	v_mul_f64 v[74:75], v[30:31], v[62:63]
	v_mul_f64 v[30:31], v[30:31], v[60:61]
	v_fma_f64 v[54:55], v[16:17], v[54:55], -v[18:19]
	v_mad_u64_u32 v[76:77], null, s11, v184, v[69:70]
	v_mov_b32_e32 v69, v73
	ds_read_b128 v[16:19], v202 offset:1664
	v_fma_f64 v[56:57], v[24:25], v[56:57], v[70:71]
	v_fma_f64 v[58:59], v[24:25], v[58:59], -v[26:27]
	v_mad_u64_u32 v[77:78], null, s9, v201, v[69:70]
	v_mov_b32_e32 v69, v76
	v_mov_b32_e32 v73, v77
	s_waitcnt lgkmcnt(1)
	v_mul_f64 v[70:71], v[34:35], v[66:67]
	v_mul_f64 v[34:35], v[34:35], v[64:65]
	;; [unrolled: 1-line block ×3, first 2 shown]
	v_fma_f64 v[60:61], v[28:29], v[60:61], v[74:75]
	v_fma_f64 v[62:63], v[28:29], v[62:63], -v[30:31]
	ds_read_b128 v[28:31], v202 offset:2080
	v_lshlrev_b64 v[52:53], 4, v[68:69]
	v_mul_f64 v[26:27], v[54:55], s[0:1]
	v_lshlrev_b64 v[54:55], 4, v[72:73]
	s_waitcnt lgkmcnt(1)
	v_mul_f64 v[68:69], v[38:39], v[18:19]
	v_mul_f64 v[38:39], v[38:39], v[16:17]
	v_add_co_u32 v52, vcc_lo, s4, v52
	v_add_co_ci_u32_e32 v53, vcc_lo, s5, v53, vcc_lo
	v_add_co_u32 v72, vcc_lo, v52, v54
	v_add_co_ci_u32_e32 v73, vcc_lo, v53, v55, vcc_lo
	v_mul_f64 v[52:53], v[56:57], s[0:1]
	v_mul_f64 v[54:55], v[58:59], s[0:1]
	;; [unrolled: 1-line block ×4, first 2 shown]
	v_fma_f64 v[60:61], v[32:33], v[64:65], v[70:71]
	v_fma_f64 v[62:63], v[32:33], v[66:67], -v[34:35]
	ds_read_b128 v[32:35], v202 offset:2496
	v_add_co_u32 v64, vcc_lo, v72, s3
	v_add_co_ci_u32_e32 v65, vcc_lo, s2, v73, vcc_lo
	s_waitcnt lgkmcnt(1)
	v_mul_f64 v[76:77], v[6:7], v[30:31]
	v_mul_f64 v[6:7], v[6:7], v[28:29]
	v_fma_f64 v[66:67], v[36:37], v[16:17], v[68:69]
	v_add_co_u32 v68, vcc_lo, v64, s3
	v_fma_f64 v[74:75], v[36:37], v[18:19], -v[38:39]
	ds_read_b128 v[16:19], v202 offset:2912
	v_add_co_ci_u32_e32 v69, vcc_lo, s2, v65, vcc_lo
	global_store_dwordx4 v[72:73], v[24:27], off
	global_store_dwordx4 v[64:65], v[52:55], off
	;; [unrolled: 1-line block ×3, first 2 shown]
	ds_read_b128 v[36:39], v202 offset:3328
	s_waitcnt lgkmcnt(2)
	v_mul_f64 v[72:73], v[10:11], v[34:35]
	v_mul_f64 v[10:11], v[10:11], v[32:33]
	ds_read_b128 v[52:55], v202 offset:3744
	ds_read_b128 v[56:59], v202 offset:4160
	v_add_co_u32 v78, vcc_lo, v68, s3
	v_mul_f64 v[24:25], v[60:61], s[0:1]
	v_mul_f64 v[26:27], v[62:63], s[0:1]
	ds_read_b128 v[60:63], v202 offset:4576
	v_add_co_ci_u32_e32 v79, vcc_lo, s2, v69, vcc_lo
	ds_read_b128 v[68:71], v202 offset:4992
	v_fma_f64 v[28:29], v[4:5], v[28:29], v[76:77]
	v_fma_f64 v[4:5], v[4:5], v[30:31], -v[6:7]
	s_waitcnt lgkmcnt(5)
	v_mul_f64 v[6:7], v[2:3], v[18:19]
	v_mul_f64 v[30:31], v[2:3], v[16:17]
	;; [unrolled: 1-line block ×4, first 2 shown]
	v_add_co_u32 v74, vcc_lo, v78, s3
	s_waitcnt lgkmcnt(4)
	v_mul_f64 v[76:77], v[14:15], v[38:39]
	v_mul_f64 v[14:15], v[14:15], v[36:37]
	v_add_co_ci_u32_e32 v75, vcc_lo, s2, v79, vcc_lo
	v_fma_f64 v[32:33], v[8:9], v[32:33], v[72:73]
	v_fma_f64 v[8:9], v[8:9], v[34:35], -v[10:11]
	s_waitcnt lgkmcnt(3)
	v_mul_f64 v[10:11], v[22:23], v[54:55]
	v_mul_f64 v[22:23], v[22:23], v[52:53]
	s_waitcnt lgkmcnt(2)
	v_mul_f64 v[34:35], v[42:43], v[58:59]
	v_mul_f64 v[42:43], v[42:43], v[56:57]
	;; [unrolled: 3-line block ×4, first 2 shown]
	global_store_dwordx4 v[78:79], v[24:27], off
	global_store_dwordx4 v[74:75], v[64:67], off
	v_fma_f64 v[16:17], v[0:1], v[16:17], v[6:7]
	v_fma_f64 v[0:1], v[0:1], v[18:19], -v[30:31]
	v_mul_f64 v[2:3], v[28:29], s[0:1]
	v_fma_f64 v[18:19], v[12:13], v[36:37], v[76:77]
	v_fma_f64 v[24:25], v[12:13], v[38:39], -v[14:15]
	v_add_co_u32 v64, vcc_lo, v74, s3
	v_mul_f64 v[6:7], v[32:33], s[0:1]
	v_add_co_ci_u32_e32 v65, vcc_lo, s2, v75, vcc_lo
	v_fma_f64 v[26:27], v[20:21], v[52:53], v[10:11]
	v_fma_f64 v[20:21], v[20:21], v[54:55], -v[22:23]
	v_fma_f64 v[22:23], v[40:41], v[56:57], v[34:35]
	v_fma_f64 v[28:29], v[40:41], v[58:59], -v[42:43]
	;; [unrolled: 2-line block ×4, first 2 shown]
	v_mul_f64 v[4:5], v[4:5], s[0:1]
	v_add_co_u32 v38, vcc_lo, v64, s3
	v_add_co_ci_u32_e32 v39, vcc_lo, s2, v65, vcc_lo
	v_mul_f64 v[12:13], v[0:1], s[0:1]
	v_add_co_u32 v0, vcc_lo, v38, s3
	v_add_co_ci_u32_e32 v1, vcc_lo, s2, v39, vcc_lo
	v_mul_f64 v[8:9], v[8:9], s[0:1]
	v_mul_f64 v[10:11], v[16:17], s[0:1]
	v_add_co_u32 v40, vcc_lo, v0, s3
	v_mul_f64 v[14:15], v[18:19], s[0:1]
	v_mul_f64 v[16:17], v[24:25], s[0:1]
	v_add_co_ci_u32_e32 v41, vcc_lo, s2, v1, vcc_lo
	v_mul_f64 v[18:19], v[26:27], s[0:1]
	v_mul_f64 v[20:21], v[20:21], s[0:1]
	;; [unrolled: 1-line block ×8, first 2 shown]
	v_add_co_u32 v34, vcc_lo, v40, s3
	v_add_co_ci_u32_e32 v35, vcc_lo, s2, v41, vcc_lo
	global_store_dwordx4 v[64:65], v[2:5], off
	v_add_co_u32 v2, vcc_lo, v34, s3
	v_add_co_ci_u32_e32 v3, vcc_lo, s2, v35, vcc_lo
	global_store_dwordx4 v[38:39], v[6:9], off
	;; [unrolled: 3-line block ×4, first 2 shown]
	global_store_dwordx4 v[34:35], v[18:21], off
	global_store_dwordx4 v[2:3], v[22:25], off
	;; [unrolled: 1-line block ×4, first 2 shown]
.LBB0_10:
	s_endpgm
	.section	.rodata,"a",@progbits
	.p2align	6, 0x0
	.amdhsa_kernel bluestein_single_back_len338_dim1_dp_op_CI_CI
		.amdhsa_group_segment_fixed_size 10816
		.amdhsa_private_segment_fixed_size 0
		.amdhsa_kernarg_size 104
		.amdhsa_user_sgpr_count 6
		.amdhsa_user_sgpr_private_segment_buffer 1
		.amdhsa_user_sgpr_dispatch_ptr 0
		.amdhsa_user_sgpr_queue_ptr 0
		.amdhsa_user_sgpr_kernarg_segment_ptr 1
		.amdhsa_user_sgpr_dispatch_id 0
		.amdhsa_user_sgpr_flat_scratch_init 0
		.amdhsa_user_sgpr_private_segment_size 0
		.amdhsa_wavefront_size32 1
		.amdhsa_uses_dynamic_stack 0
		.amdhsa_system_sgpr_private_segment_wavefront_offset 0
		.amdhsa_system_sgpr_workgroup_id_x 1
		.amdhsa_system_sgpr_workgroup_id_y 0
		.amdhsa_system_sgpr_workgroup_id_z 0
		.amdhsa_system_sgpr_workgroup_info 0
		.amdhsa_system_vgpr_workitem_id 0
		.amdhsa_next_free_vgpr 251
		.amdhsa_next_free_sgpr 46
		.amdhsa_reserve_vcc 1
		.amdhsa_reserve_flat_scratch 0
		.amdhsa_float_round_mode_32 0
		.amdhsa_float_round_mode_16_64 0
		.amdhsa_float_denorm_mode_32 3
		.amdhsa_float_denorm_mode_16_64 3
		.amdhsa_dx10_clamp 1
		.amdhsa_ieee_mode 1
		.amdhsa_fp16_overflow 0
		.amdhsa_workgroup_processor_mode 1
		.amdhsa_memory_ordered 1
		.amdhsa_forward_progress 0
		.amdhsa_shared_vgpr_count 0
		.amdhsa_exception_fp_ieee_invalid_op 0
		.amdhsa_exception_fp_denorm_src 0
		.amdhsa_exception_fp_ieee_div_zero 0
		.amdhsa_exception_fp_ieee_overflow 0
		.amdhsa_exception_fp_ieee_underflow 0
		.amdhsa_exception_fp_ieee_inexact 0
		.amdhsa_exception_int_div_zero 0
	.end_amdhsa_kernel
	.text
.Lfunc_end0:
	.size	bluestein_single_back_len338_dim1_dp_op_CI_CI, .Lfunc_end0-bluestein_single_back_len338_dim1_dp_op_CI_CI
                                        ; -- End function
	.section	.AMDGPU.csdata,"",@progbits
; Kernel info:
; codeLenInByte = 21224
; NumSgprs: 48
; NumVgprs: 251
; ScratchSize: 0
; MemoryBound: 0
; FloatMode: 240
; IeeeMode: 1
; LDSByteSize: 10816 bytes/workgroup (compile time only)
; SGPRBlocks: 5
; VGPRBlocks: 31
; NumSGPRsForWavesPerEU: 48
; NumVGPRsForWavesPerEU: 251
; Occupancy: 4
; WaveLimiterHint : 1
; COMPUTE_PGM_RSRC2:SCRATCH_EN: 0
; COMPUTE_PGM_RSRC2:USER_SGPR: 6
; COMPUTE_PGM_RSRC2:TRAP_HANDLER: 0
; COMPUTE_PGM_RSRC2:TGID_X_EN: 1
; COMPUTE_PGM_RSRC2:TGID_Y_EN: 0
; COMPUTE_PGM_RSRC2:TGID_Z_EN: 0
; COMPUTE_PGM_RSRC2:TIDIG_COMP_CNT: 0
	.text
	.p2alignl 6, 3214868480
	.fill 48, 4, 3214868480
	.type	__hip_cuid_1092c4de9d67dce9,@object ; @__hip_cuid_1092c4de9d67dce9
	.section	.bss,"aw",@nobits
	.globl	__hip_cuid_1092c4de9d67dce9
__hip_cuid_1092c4de9d67dce9:
	.byte	0                               ; 0x0
	.size	__hip_cuid_1092c4de9d67dce9, 1

	.ident	"AMD clang version 19.0.0git (https://github.com/RadeonOpenCompute/llvm-project roc-6.4.0 25133 c7fe45cf4b819c5991fe208aaa96edf142730f1d)"
	.section	".note.GNU-stack","",@progbits
	.addrsig
	.addrsig_sym __hip_cuid_1092c4de9d67dce9
	.amdgpu_metadata
---
amdhsa.kernels:
  - .args:
      - .actual_access:  read_only
        .address_space:  global
        .offset:         0
        .size:           8
        .value_kind:     global_buffer
      - .actual_access:  read_only
        .address_space:  global
        .offset:         8
        .size:           8
        .value_kind:     global_buffer
      - .actual_access:  read_only
        .address_space:  global
        .offset:         16
        .size:           8
        .value_kind:     global_buffer
      - .actual_access:  read_only
        .address_space:  global
        .offset:         24
        .size:           8
        .value_kind:     global_buffer
      - .actual_access:  read_only
        .address_space:  global
        .offset:         32
        .size:           8
        .value_kind:     global_buffer
      - .offset:         40
        .size:           8
        .value_kind:     by_value
      - .address_space:  global
        .offset:         48
        .size:           8
        .value_kind:     global_buffer
      - .address_space:  global
        .offset:         56
        .size:           8
        .value_kind:     global_buffer
      - .address_space:  global
        .offset:         64
        .size:           8
        .value_kind:     global_buffer
      - .address_space:  global
        .offset:         72
        .size:           8
        .value_kind:     global_buffer
      - .offset:         80
        .size:           4
        .value_kind:     by_value
      - .address_space:  global
        .offset:         88
        .size:           8
        .value_kind:     global_buffer
      - .address_space:  global
        .offset:         96
        .size:           8
        .value_kind:     global_buffer
    .group_segment_fixed_size: 10816
    .kernarg_segment_align: 8
    .kernarg_segment_size: 104
    .language:       OpenCL C
    .language_version:
      - 2
      - 0
    .max_flat_workgroup_size: 52
    .name:           bluestein_single_back_len338_dim1_dp_op_CI_CI
    .private_segment_fixed_size: 0
    .sgpr_count:     48
    .sgpr_spill_count: 0
    .symbol:         bluestein_single_back_len338_dim1_dp_op_CI_CI.kd
    .uniform_work_group_size: 1
    .uses_dynamic_stack: false
    .vgpr_count:     251
    .vgpr_spill_count: 0
    .wavefront_size: 32
    .workgroup_processor_mode: 1
amdhsa.target:   amdgcn-amd-amdhsa--gfx1030
amdhsa.version:
  - 1
  - 2
...

	.end_amdgpu_metadata
